;; amdgpu-corpus repo=ROCm/rocFFT kind=compiled arch=gfx950 opt=O3
	.text
	.amdgcn_target "amdgcn-amd-amdhsa--gfx950"
	.amdhsa_code_object_version 6
	.protected	fft_rtc_back_len936_factors_2_2_13_2_3_3_wgs_234_tpt_78_halfLds_sp_ip_CI_unitstride_sbrr_R2C_dirReg ; -- Begin function fft_rtc_back_len936_factors_2_2_13_2_3_3_wgs_234_tpt_78_halfLds_sp_ip_CI_unitstride_sbrr_R2C_dirReg
	.globl	fft_rtc_back_len936_factors_2_2_13_2_3_3_wgs_234_tpt_78_halfLds_sp_ip_CI_unitstride_sbrr_R2C_dirReg
	.p2align	8
	.type	fft_rtc_back_len936_factors_2_2_13_2_3_3_wgs_234_tpt_78_halfLds_sp_ip_CI_unitstride_sbrr_R2C_dirReg,@function
fft_rtc_back_len936_factors_2_2_13_2_3_3_wgs_234_tpt_78_halfLds_sp_ip_CI_unitstride_sbrr_R2C_dirReg: ; @fft_rtc_back_len936_factors_2_2_13_2_3_3_wgs_234_tpt_78_halfLds_sp_ip_CI_unitstride_sbrr_R2C_dirReg
; %bb.0:
	s_load_dwordx2 s[8:9], s[0:1], 0x50
	s_load_dwordx4 s[4:7], s[0:1], 0x0
	s_load_dwordx2 s[10:11], s[0:1], 0x18
	v_mul_u32_u24_e32 v1, 0x349, v0
	v_lshrrev_b32_e32 v2, 16, v1
	v_mad_u64_u32 v[2:3], s[2:3], s2, 3, v[2:3]
	v_mov_b32_e32 v6, 0
	v_mov_b32_e32 v3, v6
	s_waitcnt lgkmcnt(0)
	v_cmp_lt_u64_e64 s[2:3], s[6:7], 2
	s_and_b64 vcc, exec, s[2:3]
	v_mov_b64_e32 v[4:5], 0
	v_mov_b64_e32 v[10:11], v[2:3]
	s_cbranch_vccnz .LBB0_8
; %bb.1:
	s_load_dwordx2 s[2:3], s[0:1], 0x10
	s_add_u32 s12, s10, 8
	s_addc_u32 s13, s11, 0
	s_mov_b64 s[14:15], 1
	v_mov_b64_e32 v[4:5], 0
	s_waitcnt lgkmcnt(0)
	s_add_u32 s16, s2, 8
	s_addc_u32 s17, s3, 0
	v_mov_b64_e32 v[8:9], v[2:3]
.LBB0_2:                                ; =>This Inner Loop Header: Depth=1
	s_load_dwordx2 s[18:19], s[16:17], 0x0
                                        ; implicit-def: $vgpr10_vgpr11
	s_waitcnt lgkmcnt(0)
	v_or_b32_e32 v7, s19, v9
	v_cmp_ne_u64_e32 vcc, 0, v[6:7]
	s_and_saveexec_b64 s[2:3], vcc
	s_xor_b64 s[20:21], exec, s[2:3]
	s_cbranch_execz .LBB0_4
; %bb.3:                                ;   in Loop: Header=BB0_2 Depth=1
	v_cvt_f32_u32_e32 v1, s18
	v_cvt_f32_u32_e32 v3, s19
	s_sub_u32 s2, 0, s18
	s_subb_u32 s3, 0, s19
	v_fmac_f32_e32 v1, 0x4f800000, v3
	v_rcp_f32_e32 v1, v1
	s_nop 0
	v_mul_f32_e32 v1, 0x5f7ffffc, v1
	v_mul_f32_e32 v3, 0x2f800000, v1
	v_trunc_f32_e32 v3, v3
	v_fmac_f32_e32 v1, 0xcf800000, v3
	v_cvt_u32_f32_e32 v3, v3
	v_cvt_u32_f32_e32 v1, v1
	v_mul_lo_u32 v7, s2, v3
	v_mul_hi_u32 v10, s2, v1
	v_mul_lo_u32 v11, s3, v1
	v_add_u32_e32 v7, v10, v7
	v_mul_lo_u32 v14, s2, v1
	v_add_u32_e32 v7, v7, v11
	v_mul_hi_u32 v10, v1, v14
	v_mul_hi_u32 v13, v1, v7
	v_mul_lo_u32 v12, v1, v7
	v_mov_b32_e32 v11, v6
	v_lshl_add_u64 v[10:11], v[10:11], 0, v[12:13]
	v_mul_hi_u32 v13, v3, v14
	v_mul_lo_u32 v14, v3, v14
	v_add_co_u32_e32 v10, vcc, v10, v14
	v_mul_hi_u32 v12, v3, v7
	s_nop 0
	v_addc_co_u32_e32 v10, vcc, v11, v13, vcc
	v_mov_b32_e32 v11, v6
	s_nop 0
	v_addc_co_u32_e32 v13, vcc, 0, v12, vcc
	v_mul_lo_u32 v12, v3, v7
	v_lshl_add_u64 v[10:11], v[10:11], 0, v[12:13]
	v_add_co_u32_e32 v1, vcc, v1, v10
	v_mul_hi_u32 v10, s2, v1
	s_nop 0
	v_addc_co_u32_e32 v3, vcc, v3, v11, vcc
	v_mul_lo_u32 v7, s2, v3
	v_add_u32_e32 v7, v10, v7
	v_mul_lo_u32 v10, s3, v1
	v_add_u32_e32 v7, v7, v10
	v_mul_lo_u32 v12, s2, v1
	v_mul_hi_u32 v15, v3, v12
	v_mul_lo_u32 v16, v3, v12
	v_mul_hi_u32 v11, v1, v7
	;; [unrolled: 2-line block ×3, first 2 shown]
	v_mov_b32_e32 v13, v6
	v_lshl_add_u64 v[10:11], v[12:13], 0, v[10:11]
	v_add_co_u32_e32 v10, vcc, v10, v16
	v_mul_hi_u32 v14, v3, v7
	s_nop 0
	v_addc_co_u32_e32 v10, vcc, v11, v15, vcc
	v_mul_lo_u32 v12, v3, v7
	s_nop 0
	v_addc_co_u32_e32 v13, vcc, 0, v14, vcc
	v_mov_b32_e32 v11, v6
	v_lshl_add_u64 v[10:11], v[10:11], 0, v[12:13]
	v_add_co_u32_e32 v1, vcc, v1, v10
	v_mul_hi_u32 v12, v8, v1
	s_nop 0
	v_addc_co_u32_e32 v3, vcc, v3, v11, vcc
	v_mad_u64_u32 v[10:11], s[2:3], v8, v3, 0
	v_mov_b32_e32 v13, v6
	v_lshl_add_u64 v[10:11], v[12:13], 0, v[10:11]
	v_mad_u64_u32 v[14:15], s[2:3], v9, v1, 0
	v_add_co_u32_e32 v1, vcc, v10, v14
	v_mad_u64_u32 v[12:13], s[2:3], v9, v3, 0
	s_nop 0
	v_addc_co_u32_e32 v10, vcc, v11, v15, vcc
	v_mov_b32_e32 v11, v6
	s_nop 0
	v_addc_co_u32_e32 v13, vcc, 0, v13, vcc
	v_lshl_add_u64 v[10:11], v[10:11], 0, v[12:13]
	v_mul_lo_u32 v1, s19, v10
	v_mul_lo_u32 v3, s18, v11
	v_mad_u64_u32 v[12:13], s[2:3], s18, v10, 0
	v_add3_u32 v1, v13, v3, v1
	v_sub_u32_e32 v3, v9, v1
	v_mov_b32_e32 v7, s19
	v_sub_co_u32_e32 v16, vcc, v8, v12
	v_lshl_add_u64 v[14:15], v[10:11], 0, 1
	s_nop 0
	v_subb_co_u32_e64 v3, s[2:3], v3, v7, vcc
	v_subrev_co_u32_e64 v7, s[2:3], s18, v16
	v_subb_co_u32_e32 v1, vcc, v9, v1, vcc
	s_nop 0
	v_subbrev_co_u32_e64 v3, s[2:3], 0, v3, s[2:3]
	v_cmp_le_u32_e64 s[2:3], s19, v3
	v_cmp_le_u32_e32 vcc, s19, v1
	s_nop 0
	v_cndmask_b32_e64 v12, 0, -1, s[2:3]
	v_cmp_le_u32_e64 s[2:3], s18, v7
	s_nop 1
	v_cndmask_b32_e64 v7, 0, -1, s[2:3]
	v_cmp_eq_u32_e64 s[2:3], s19, v3
	s_nop 1
	v_cndmask_b32_e64 v3, v12, v7, s[2:3]
	v_lshl_add_u64 v[12:13], v[10:11], 0, 2
	v_cmp_ne_u32_e64 s[2:3], 0, v3
	v_cndmask_b32_e64 v7, 0, -1, vcc
	v_cmp_le_u32_e32 vcc, s18, v16
	v_cndmask_b32_e64 v3, v15, v13, s[2:3]
	s_nop 0
	v_cndmask_b32_e64 v13, 0, -1, vcc
	v_cmp_eq_u32_e32 vcc, s19, v1
	s_nop 1
	v_cndmask_b32_e32 v1, v7, v13, vcc
	v_cmp_ne_u32_e32 vcc, 0, v1
	v_cndmask_b32_e64 v1, v14, v12, s[2:3]
	s_nop 0
	v_cndmask_b32_e32 v11, v11, v3, vcc
	v_cndmask_b32_e32 v10, v10, v1, vcc
.LBB0_4:                                ;   in Loop: Header=BB0_2 Depth=1
	s_andn2_saveexec_b64 s[2:3], s[20:21]
	s_cbranch_execz .LBB0_6
; %bb.5:                                ;   in Loop: Header=BB0_2 Depth=1
	v_cvt_f32_u32_e32 v1, s18
	s_sub_i32 s20, 0, s18
	v_mov_b32_e32 v11, v6
	v_rcp_iflag_f32_e32 v1, v1
	s_nop 0
	v_mul_f32_e32 v1, 0x4f7ffffe, v1
	v_cvt_u32_f32_e32 v1, v1
	v_mul_lo_u32 v3, s20, v1
	v_mul_hi_u32 v3, v1, v3
	v_add_u32_e32 v1, v1, v3
	v_mul_hi_u32 v1, v8, v1
	v_mul_lo_u32 v3, v1, s18
	v_sub_u32_e32 v3, v8, v3
	v_add_u32_e32 v7, 1, v1
	v_subrev_u32_e32 v10, s18, v3
	v_cmp_le_u32_e32 vcc, s18, v3
	s_nop 1
	v_cndmask_b32_e32 v3, v3, v10, vcc
	v_cndmask_b32_e32 v1, v1, v7, vcc
	v_add_u32_e32 v7, 1, v1
	v_cmp_le_u32_e32 vcc, s18, v3
	s_nop 1
	v_cndmask_b32_e32 v10, v1, v7, vcc
.LBB0_6:                                ;   in Loop: Header=BB0_2 Depth=1
	s_or_b64 exec, exec, s[2:3]
	v_mad_u64_u32 v[12:13], s[2:3], v10, s18, 0
	s_load_dwordx2 s[2:3], s[12:13], 0x0
	s_add_u32 s14, s14, 1
	v_mul_lo_u32 v1, v11, s18
	v_mul_lo_u32 v3, v10, s19
	s_addc_u32 s15, s15, 0
	v_add3_u32 v1, v13, v3, v1
	v_sub_co_u32_e32 v3, vcc, v8, v12
	s_add_u32 s12, s12, 8
	s_nop 0
	v_subb_co_u32_e32 v1, vcc, v9, v1, vcc
	s_addc_u32 s13, s13, 0
	v_mov_b64_e32 v[8:9], s[6:7]
	s_waitcnt lgkmcnt(0)
	v_mul_lo_u32 v1, s2, v1
	v_mul_lo_u32 v7, s3, v3
	v_mad_u64_u32 v[4:5], s[2:3], s2, v3, v[4:5]
	s_add_u32 s16, s16, 8
	v_cmp_ge_u64_e32 vcc, s[14:15], v[8:9]
	v_add3_u32 v5, v7, v5, v1
	s_addc_u32 s17, s17, 0
	s_cbranch_vccnz .LBB0_8
; %bb.7:                                ;   in Loop: Header=BB0_2 Depth=1
	v_mov_b64_e32 v[8:9], v[10:11]
	s_branch .LBB0_2
.LBB0_8:
	s_lshl_b64 s[2:3], s[6:7], 3
	s_add_u32 s2, s10, s2
	s_addc_u32 s3, s11, s3
	s_load_dwordx2 s[6:7], s[2:3], 0x0
	s_load_dwordx2 s[10:11], s[0:1], 0x20
	s_mov_b32 s2, 0x3483484
                                        ; implicit-def: $vgpr30_vgpr31
                                        ; implicit-def: $vgpr28
                                        ; implicit-def: $vgpr36
                                        ; implicit-def: $vgpr34
                                        ; implicit-def: $vgpr32
	s_waitcnt lgkmcnt(0)
	v_mad_u64_u32 v[4:5], s[0:1], s6, v10, v[4:5]
	v_mul_lo_u32 v1, s6, v11
	v_mul_lo_u32 v3, s7, v10
	s_mov_b32 s0, 0xaaaaaaab
	v_add3_u32 v5, v3, v5, v1
	v_mul_hi_u32 v1, v2, s0
	v_lshrrev_b32_e32 v1, 1, v1
	v_lshl_add_u32 v1, v1, 1, v1
	v_sub_u32_e32 v1, v2, v1
	v_mul_hi_u32 v2, v0, s2
	v_mul_u32_u24_e32 v2, 0x4e, v2
	v_cmp_gt_u64_e64 s[0:1], s[10:11], v[10:11]
	v_cmp_le_u64_e32 vcc, s[10:11], v[10:11]
	v_sub_u32_e32 v24, v0, v2
	s_and_saveexec_b64 s[2:3], vcc
	s_xor_b64 s[2:3], exec, s[2:3]
; %bb.9:
	v_add_u32_e32 v31, 0x186, v24
	v_add_u32_e32 v28, 0x4e, v24
	;; [unrolled: 1-line block ×5, first 2 shown]
	v_mov_b32_e32 v32, v31
; %bb.10:
	s_or_saveexec_b64 s[2:3], s[2:3]
	v_mul_u32_u24_e32 v0, 0x3a9, v1
	v_lshl_add_u64 v[26:27], v[4:5], 3, s[8:9]
	s_xor_b64 exec, exec, s[2:3]
	s_cbranch_execz .LBB0_12
; %bb.11:
	v_mov_b32_e32 v25, 0
	v_add_u32_e32 v31, 0x186, v24
	v_lshl_add_u64 v[2:3], v[24:25], 3, v[26:27]
	v_add_u32_e32 v30, 0x138, v24
	v_mov_b32_e32 v14, v31
	v_mov_b32_e32 v15, v25
	;; [unrolled: 1-line block ×4, first 2 shown]
	v_lshl_add_u64 v[14:15], v[14:15], 3, v[26:27]
	v_add_co_u32_e32 v16, vcc, 0x1000, v2
	global_load_dwordx2 v[4:5], v[2:3], off
	global_load_dwordx2 v[6:7], v[2:3], off offset:624
	global_load_dwordx2 v[8:9], v[2:3], off offset:1248
	;; [unrolled: 1-line block ×3, first 2 shown]
	v_lshl_add_u64 v[12:13], v[12:13], 3, v[26:27]
	v_addc_co_u32_e32 v17, vcc, 0, v3, vcc
	global_load_dwordx2 v[18:19], v[14:15], off
	global_load_dwordx2 v[20:21], v[16:17], off offset:272
	global_load_dwordx2 v[22:23], v[12:13], off
	global_load_dwordx2 v[32:33], v[2:3], off offset:3744
	global_load_dwordx2 v[38:39], v[16:17], off offset:896
	;; [unrolled: 1-line block ×5, first 2 shown]
	v_lshl_add_u32 v1, v0, 3, 0
	v_lshl_add_u32 v2, v24, 3, v1
	v_add_u32_e32 v28, 0x4e, v24
	v_add_u32_e32 v36, 0x9c, v24
	;; [unrolled: 1-line block ×3, first 2 shown]
	v_lshl_add_u32 v3, v30, 3, v1
	v_lshl_add_u32 v1, v31, 3, v1
	v_add_u32_e32 v12, 0xc00, v2
	v_add_u32_e32 v13, 0x1000, v2
	v_add_u32_e32 v14, 0x1800, v2
	s_waitcnt vmcnt(10)
	ds_write2_b64 v2, v[4:5], v[6:7] offset1:78
	s_waitcnt vmcnt(8)
	ds_write2_b64 v2, v[8:9], v[10:11] offset0:156 offset1:234
	s_waitcnt vmcnt(5)
	ds_write_b64 v3, v[22:23]
	ds_write_b64 v1, v[18:19]
	s_waitcnt vmcnt(4)
	ds_write2_b64 v12, v[32:33], v[20:21] offset0:84 offset1:162
	s_waitcnt vmcnt(2)
	ds_write2_b64 v13, v[38:39], v[40:41] offset0:112 offset1:190
	s_waitcnt vmcnt(0)
	ds_write2_b64 v14, v[42:43], v[44:45] offset0:12 offset1:90
	v_mov_b32_e32 v32, v31
.LBB0_12:
	s_or_b64 exec, exec, s[2:3]
	v_lshlrev_b32_e32 v39, 3, v0
	v_lshlrev_b32_e32 v25, 3, v24
	v_add3_u32 v29, 0, v25, v39
	v_add_u32_e32 v22, 0x800, v29
	s_waitcnt lgkmcnt(0)
	s_barrier
	ds_read2_b64 v[0:3], v22 offset0:134 offset1:212
	ds_read_b64 v[4:5], v29 offset:6864
	v_add_u32_e32 v81, 0, v39
	v_add_u32_e32 v80, v81, v25
	ds_read_b64 v[20:21], v80
	v_add_u32_e32 v41, 0x400, v29
	v_add_u32_e32 v8, 0x1400, v29
	;; [unrolled: 1-line block ×3, first 2 shown]
	s_waitcnt lgkmcnt(1)
	v_pk_add_f32 v[42:43], v[0:1], v[4:5] neg_lo:[0,1] neg_hi:[0,1]
	ds_read2_b64 v[4:7], v41 offset0:106 offset1:184
	ds_read2_b64 v[8:11], v8 offset0:62 offset1:140
	;; [unrolled: 1-line block ×4, first 2 shown]
	s_waitcnt lgkmcnt(4)
	v_pk_add_f32 v[2:3], v[20:21], v[2:3] neg_lo:[0,1] neg_hi:[0,1]
	v_add_u32_e32 v33, v29, v25
	v_pk_fma_f32 v[0:1], v[0:1], 2.0, v[42:43] op_sel_hi:[1,0,1] neg_lo:[0,0,1] neg_hi:[0,0,1]
	s_waitcnt lgkmcnt(2)
	v_pk_add_f32 v[10:11], v[6:7], v[10:11] neg_lo:[0,1] neg_hi:[0,1]
	v_pk_add_f32 v[8:9], v[4:5], v[8:9] neg_lo:[0,1] neg_hi:[0,1]
	s_waitcnt lgkmcnt(0)
	v_pk_add_f32 v[18:19], v[14:15], v[18:19] neg_lo:[0,1] neg_hi:[0,1]
	v_pk_add_f32 v[16:17], v[12:13], v[16:17] neg_lo:[0,1] neg_hi:[0,1]
	v_pk_fma_f32 v[20:21], v[20:21], 2.0, v[2:3] op_sel_hi:[1,0,1] neg_lo:[0,0,1] neg_hi:[0,0,1]
	v_and_b32_e32 v62, 1, v24
	v_lshl_add_u32 v35, v28, 4, v81
	v_lshl_add_u32 v38, v36, 4, v81
	;; [unrolled: 1-line block ×5, first 2 shown]
	v_pk_fma_f32 v[6:7], v[6:7], 2.0, v[10:11] op_sel_hi:[1,0,1] neg_lo:[0,0,1] neg_hi:[0,0,1]
	v_pk_fma_f32 v[4:5], v[4:5], 2.0, v[8:9] op_sel_hi:[1,0,1] neg_lo:[0,0,1] neg_hi:[0,0,1]
	;; [unrolled: 1-line block ×4, first 2 shown]
	s_barrier
	ds_write2_b64 v33, v[20:21], v[2:3] offset1:1
	ds_write2_b64 v35, v[12:13], v[16:17] offset1:1
	ds_write2_b64 v38, v[14:15], v[18:19] offset1:1
	ds_write2_b64 v40, v[4:5], v[8:9] offset1:1
	ds_write2_b64 v44, v[6:7], v[10:11] offset1:1
	ds_write2_b64 v46, v[0:1], v[42:43] offset1:1
	v_lshlrev_b32_e32 v0, 3, v62
	s_waitcnt lgkmcnt(0)
	s_barrier
	global_load_dwordx2 v[12:13], v0, s[4:5]
	v_lshlrev_b32_e32 v0, 3, v28
	v_lshlrev_b32_e32 v1, 3, v36
	;; [unrolled: 1-line block ×5, first 2 shown]
	v_add_u32_e32 v45, 0xc00, v29
	v_add_u32_e32 v43, 0x1800, v29
	v_sub_u32_e32 v37, v35, v0
	v_sub_u32_e32 v35, v38, v1
	;; [unrolled: 1-line block ×5, first 2 shown]
	ds_read2_b64 v[0:3], v45 offset0:84 offset1:162
	ds_read2_b64 v[4:7], v43 offset0:12 offset1:90
	;; [unrolled: 1-line block ×3, first 2 shown]
	ds_read_b64 v[14:15], v83
	ds_read_b64 v[18:19], v82
	;; [unrolled: 1-line block ×3, first 2 shown]
	s_waitcnt lgkmcnt(5)
	v_mov_b32_e32 v16, v1
	v_lshlrev_b32_e32 v44, 1, v24
	s_movk_i32 s2, 0xfc
	v_lshlrev_b32_e32 v38, 1, v28
	v_and_or_b32 v40, v44, s2, v62
	s_movk_i32 s2, 0x1fc
	v_lshl_add_u32 v40, v40, 3, v81
	v_and_or_b32 v42, v38, s2, v62
	v_lshl_add_u32 v42, v42, 3, v81
	s_movk_i32 s2, 0x3fc
	s_movk_i32 s3, 0x7fc
	s_waitcnt vmcnt(0) lgkmcnt(4)
	v_pk_mul_f32 v[20:21], v[12:13], v[6:7] op_sel:[0,1]
	v_pk_mul_f32 v[48:49], v[12:13], v[0:1] op_sel_hi:[1,0]
	v_pk_mul_f32 v[50:51], v[12:13], v[4:5] op_sel:[0,1]
	s_waitcnt lgkmcnt(3)
	v_pk_mul_f32 v[52:53], v[12:13], v[10:11] op_sel:[0,1]
	v_pk_mul_f32 v[54:55], v[12:13], v[8:9] op_sel:[0,1]
	;; [unrolled: 1-line block ×3, first 2 shown]
	v_pk_fma_f32 v[58:59], v[12:13], v[6:7], v[20:21] op_sel:[0,0,1] op_sel_hi:[1,1,0]
	v_pk_fma_f32 v[6:7], v[12:13], v[6:7], v[20:21] op_sel:[0,0,1] op_sel_hi:[1,0,0] neg_lo:[1,0,0] neg_hi:[1,0,0]
	v_pk_fma_f32 v[0:1], v[12:13], v[0:1], v[48:49] op_sel:[1,1,0] op_sel_hi:[0,1,1] neg_lo:[0,0,1] neg_hi:[0,0,1]
	v_pk_fma_f32 v[48:49], v[12:13], v[16:17], v[48:49] op_sel:[1,0,0] op_sel_hi:[0,1,1]
	v_pk_fma_f32 v[60:61], v[12:13], v[4:5], v[50:51] op_sel:[0,0,1] op_sel_hi:[1,1,0]
	v_pk_fma_f32 v[4:5], v[12:13], v[4:5], v[50:51] op_sel:[0,0,1] op_sel_hi:[1,0,0] neg_lo:[1,0,0] neg_hi:[1,0,0]
	v_pk_fma_f32 v[50:51], v[12:13], v[10:11], v[52:53] op_sel:[0,0,1] op_sel_hi:[1,1,0]
	v_pk_fma_f32 v[10:11], v[12:13], v[10:11], v[52:53] op_sel:[0,0,1] op_sel_hi:[1,0,0] neg_lo:[1,0,0] neg_hi:[1,0,0]
	v_pk_fma_f32 v[52:53], v[12:13], v[8:9], v[54:55] op_sel:[0,0,1] op_sel_hi:[1,1,0]
	v_pk_fma_f32 v[8:9], v[12:13], v[8:9], v[54:55] op_sel:[0,0,1] op_sel_hi:[1,0,0] neg_lo:[1,0,0] neg_hi:[1,0,0]
	v_pk_fma_f32 v[54:55], v[12:13], v[2:3], v[56:57] op_sel:[0,0,1] op_sel_hi:[1,1,0]
	v_pk_fma_f32 v[2:3], v[12:13], v[2:3], v[56:57] op_sel:[0,0,1] op_sel_hi:[1,0,0] neg_lo:[1,0,0] neg_hi:[1,0,0]
	v_mov_b32_e32 v59, v7
	v_mov_b32_e32 v49, v1
	ds_read_b64 v[56:57], v80
	ds_read_b64 v[6:7], v37
	;; [unrolled: 1-line block ×3, first 2 shown]
	v_mov_b32_e32 v51, v11
	v_mov_b32_e32 v53, v9
	;; [unrolled: 1-line block ×3, first 2 shown]
	s_waitcnt lgkmcnt(3)
	v_pk_add_f32 v[12:13], v[46:47], v[50:51] neg_lo:[0,1] neg_hi:[0,1]
	s_waitcnt lgkmcnt(0)
	v_pk_add_f32 v[8:9], v[0:1], v[52:53] neg_lo:[0,1] neg_hi:[0,1]
	v_mov_b32_e32 v55, v3
	v_pk_add_f32 v[4:5], v[56:57], v[48:49] neg_lo:[0,1] neg_hi:[0,1]
	v_pk_fma_f32 v[10:11], v[46:47], 2.0, v[12:13] op_sel_hi:[1,0,1] neg_lo:[0,0,1] neg_hi:[0,0,1]
	v_pk_fma_f32 v[2:3], v[0:1], 2.0, v[8:9] op_sel_hi:[1,0,1] neg_lo:[0,0,1] neg_hi:[0,0,1]
	v_pk_add_f32 v[0:1], v[6:7], v[54:55] neg_lo:[0,1] neg_hi:[0,1]
	v_pk_fma_f32 v[46:47], v[56:57], 2.0, v[4:5] op_sel_hi:[1,0,1] neg_lo:[0,0,1] neg_hi:[0,0,1]
	v_pk_fma_f32 v[6:7], v[6:7], 2.0, v[0:1] op_sel_hi:[1,0,1] neg_lo:[0,0,1] neg_hi:[0,0,1]
	s_barrier
	ds_write2_b64 v40, v[46:47], v[4:5] offset1:2
	ds_write2_b64 v42, v[6:7], v[0:1] offset1:2
	v_lshlrev_b32_e32 v40, 1, v36
	v_and_or_b32 v42, v40, s2, v62
	v_lshl_add_u32 v42, v42, 3, v81
	ds_write2_b64 v42, v[2:3], v[8:9] offset1:2
	v_lshlrev_b32_e32 v42, 1, v30
	v_and_or_b32 v48, v42, s2, v62
	v_lshlrev_b32_e32 v42, 1, v32
	v_and_or_b32 v49, v42, s3, v62
	v_lshlrev_b32_e32 v42, 1, v34
	v_pk_add_f32 v[16:17], v[14:15], v[60:61] neg_lo:[0,1] neg_hi:[0,1]
	v_and_or_b32 v50, v42, s2, v62
	v_pk_add_f32 v[20:21], v[18:19], v[58:59] neg_lo:[0,1] neg_hi:[0,1]
	v_pk_fma_f32 v[14:15], v[14:15], 2.0, v[16:17] op_sel_hi:[1,0,1] neg_lo:[0,0,1] neg_hi:[0,0,1]
	v_lshl_add_u32 v50, v50, 3, v81
	v_lshl_add_u32 v48, v48, 3, v81
	s_movk_i32 s2, 0x48
	v_pk_fma_f32 v[18:19], v[18:19], 2.0, v[20:21] op_sel_hi:[1,0,1] neg_lo:[0,0,1] neg_hi:[0,0,1]
	ds_write2_b64 v50, v[10:11], v[12:13] offset1:2
	ds_write2_b64 v48, v[14:15], v[16:17] offset1:2
	v_lshl_add_u32 v48, v49, 3, v81
	v_cmp_gt_u32_e32 vcc, s2, v24
	ds_write2_b64 v48, v[18:19], v[20:21] offset1:2
	s_waitcnt lgkmcnt(0)
	s_barrier
	s_and_saveexec_b64 s[2:3], vcc
	s_cbranch_execz .LBB0_14
; %bb.13:
	ds_read_b64 v[46:47], v80
	ds_read2_b64 v[4:7], v29 offset0:72 offset1:144
	ds_read2_b64 v[0:3], v41 offset0:88 offset1:160
	;; [unrolled: 1-line block ×6, first 2 shown]
.LBB0_14:
	s_or_b64 exec, exec, s[2:3]
	s_waitcnt lgkmcnt(0)
	s_barrier
	s_and_saveexec_b64 s[2:3], vcc
	s_cbranch_execz .LBB0_16
; %bb.15:
	v_and_b32_e32 v41, 3, v24
	v_mul_u32_u24_e32 v43, 12, v41
	v_lshlrev_b32_e32 v43, 3, v43
	global_load_dwordx4 v[48:51], v43, s[4:5] offset:96
	global_load_dwordx4 v[52:55], v43, s[4:5] offset:80
	global_load_dwordx4 v[56:59], v43, s[4:5] offset:64
	global_load_dwordx4 v[60:63], v43, s[4:5] offset:48
	global_load_dwordx4 v[64:67], v43, s[4:5] offset:16
	global_load_dwordx4 v[68:71], v43, s[4:5] offset:32
	v_mov_b32_e32 v72, v23
	v_mov_b32_e32 v74, v21
	v_mov_b32_e32 v76, v19
	v_mov_b32_e32 v78, v17
	v_mov_b32_e32 v84, v15
	v_mov_b32_e32 v86, v13
	v_mov_b32_e32 v88, v9
	v_mov_b32_e32 v90, v11
	v_mov_b32_e32 v92, v5
	v_mov_b32_e32 v94, v7
	v_mov_b32_e32 v96, v1
	v_mov_b32_e32 v98, v3
	s_mov_b32 s12, 0xbeedf032
	s_mov_b32 s8, 0x3f62ad3f
	s_mov_b32 s10, 0xbf52af12
	s_mov_b32 s6, 0x3f116cb1
	s_mov_b32 s28, 0xbf7e222b
	s_mov_b32 s16, 0xbf6f5d39
	s_mov_b32 s14, 0xbeb58ec6
	s_mov_b32 s20, 0xbf29c268
	s_mov_b32 s18, 0xbf3f9e67
	s_mov_b32 s24, 0xbe750f2a
	s_mov_b32 s22, 0xbf788fa5
	s_mov_b32 s34, 0x3f29c268
	s_mov_b32 s26, 0x3f7e222b
	s_mov_b32 s30, 0x3eedf032
	s_mov_b32 s36, 0x3f6f5d39
	s_waitcnt vmcnt(5)
	v_pk_mul_f32 v[72:73], v[72:73], v[50:51] op_sel_hi:[0,1]
	v_pk_mul_f32 v[74:75], v[74:75], v[48:49] op_sel_hi:[0,1]
	s_waitcnt vmcnt(4)
	v_pk_mul_f32 v[76:77], v[76:77], v[54:55] op_sel_hi:[0,1]
	v_pk_mul_f32 v[78:79], v[78:79], v[52:53] op_sel_hi:[0,1]
	;; [unrolled: 3-line block ×5, first 2 shown]
	v_pk_fma_f32 v[100:101], v[22:23], v[50:51], v[72:73] op_sel:[0,0,1] op_sel_hi:[1,1,0]
	v_pk_fma_f32 v[22:23], v[22:23], v[50:51], v[72:73] op_sel:[0,0,1] op_sel_hi:[0,1,0] neg_lo:[1,0,0] neg_hi:[1,0,0]
	v_pk_fma_f32 v[50:51], v[20:21], v[48:49], v[74:75] op_sel:[0,0,1] op_sel_hi:[1,1,0]
	v_pk_fma_f32 v[20:21], v[20:21], v[48:49], v[74:75] op_sel:[0,0,1] op_sel_hi:[0,1,0] neg_lo:[1,0,0] neg_hi:[1,0,0]
	v_pk_fma_f32 v[48:49], v[18:19], v[54:55], v[76:77] op_sel:[0,0,1] op_sel_hi:[1,1,0]
	v_pk_fma_f32 v[18:19], v[18:19], v[54:55], v[76:77] op_sel:[0,0,1] op_sel_hi:[0,1,0] neg_lo:[1,0,0] neg_hi:[1,0,0]
	v_pk_fma_f32 v[54:55], v[16:17], v[52:53], v[78:79] op_sel:[0,0,1] op_sel_hi:[1,1,0]
	v_pk_fma_f32 v[16:17], v[16:17], v[52:53], v[78:79] op_sel:[0,0,1] op_sel_hi:[0,1,0] neg_lo:[1,0,0] neg_hi:[1,0,0]
	v_pk_fma_f32 v[52:53], v[14:15], v[58:59], v[84:85] op_sel:[0,0,1] op_sel_hi:[1,1,0]
	v_pk_fma_f32 v[14:15], v[14:15], v[58:59], v[84:85] op_sel:[0,0,1] op_sel_hi:[0,1,0] neg_lo:[1,0,0] neg_hi:[1,0,0]
	v_pk_fma_f32 v[58:59], v[12:13], v[56:57], v[86:87] op_sel:[0,0,1] op_sel_hi:[1,1,0]
	v_pk_fma_f32 v[12:13], v[12:13], v[56:57], v[86:87] op_sel:[0,0,1] op_sel_hi:[0,1,0] neg_lo:[1,0,0] neg_hi:[1,0,0]
	v_pk_fma_f32 v[56:57], v[8:9], v[60:61], v[88:89] op_sel:[0,0,1] op_sel_hi:[1,1,0]
	v_pk_fma_f32 v[8:9], v[8:9], v[60:61], v[88:89] op_sel:[0,0,1] op_sel_hi:[0,1,0] neg_lo:[1,0,0] neg_hi:[1,0,0]
	v_pk_fma_f32 v[60:61], v[10:11], v[62:63], v[90:91] op_sel:[0,0,1] op_sel_hi:[1,1,0]
	v_pk_fma_f32 v[10:11], v[10:11], v[62:63], v[90:91] op_sel:[0,0,1] op_sel_hi:[0,1,0] neg_lo:[1,0,0] neg_hi:[1,0,0]
	v_pk_fma_f32 v[62:63], v[4:5], v[64:65], v[92:93] op_sel:[0,0,1] op_sel_hi:[1,1,0]
	v_pk_fma_f32 v[4:5], v[4:5], v[64:65], v[92:93] op_sel:[0,0,1] op_sel_hi:[0,1,0] neg_lo:[1,0,0] neg_hi:[1,0,0]
	s_waitcnt vmcnt(0)
	v_pk_mul_f32 v[96:97], v[96:97], v[68:69] op_sel_hi:[0,1]
	v_pk_mul_f32 v[98:99], v[98:99], v[70:71] op_sel_hi:[0,1]
	v_pk_fma_f32 v[64:65], v[6:7], v[66:67], v[94:95] op_sel:[0,0,1] op_sel_hi:[1,1,0]
	v_pk_fma_f32 v[6:7], v[6:7], v[66:67], v[94:95] op_sel:[0,0,1] op_sel_hi:[0,1,0] neg_lo:[1,0,0] neg_hi:[1,0,0]
	v_mov_b32_e32 v101, v23
	v_mov_b32_e32 v63, v5
	v_pk_fma_f32 v[66:67], v[2:3], v[70:71], v[98:99] op_sel:[0,0,1] op_sel_hi:[1,1,0]
	v_pk_fma_f32 v[2:3], v[2:3], v[70:71], v[98:99] op_sel:[0,0,1] op_sel_hi:[0,1,0] neg_lo:[1,0,0] neg_hi:[1,0,0]
	v_pk_fma_f32 v[70:71], v[0:1], v[68:69], v[96:97] op_sel:[0,0,1] op_sel_hi:[1,1,0]
	v_pk_fma_f32 v[0:1], v[0:1], v[68:69], v[96:97] op_sel:[0,0,1] op_sel_hi:[0,1,0] neg_lo:[1,0,0] neg_hi:[1,0,0]
	v_mov_b32_e32 v51, v21
	v_mov_b32_e32 v65, v7
	v_pk_add_f32 v[84:85], v[62:63], v[100:101] neg_lo:[0,1] neg_hi:[0,1]
	v_mov_b32_e32 v71, v1
	v_pk_add_f32 v[86:87], v[62:63], v[100:101]
	v_pk_add_f32 v[88:89], v[64:65], v[50:51] neg_lo:[0,1] neg_hi:[0,1]
	v_pk_mul_f32 v[0:1], v[84:85], s[12:13] op_sel_hi:[1,0]
	v_mov_b32_e32 v67, v3
	v_pk_add_f32 v[78:79], v[64:65], v[50:51]
	v_pk_mul_f32 v[2:3], v[88:89], s[10:11] op_sel_hi:[1,0]
	v_pk_fma_f32 v[4:5], v[86:87], s[8:9], v[0:1] op_sel:[0,0,1] op_sel_hi:[1,0,0]
	v_pk_fma_f32 v[6:7], v[86:87], s[8:9], v[0:1] op_sel:[0,0,1] op_sel_hi:[1,0,0] neg_lo:[0,0,1] neg_hi:[0,0,1]
	v_mov_b32_e32 v49, v19
	v_mov_b32_e32 v57, v9
	v_pk_fma_f32 v[0:1], v[78:79], s[6:7], v[2:3] op_sel:[0,0,1] op_sel_hi:[1,0,0]
	v_pk_fma_f32 v[2:3], v[78:79], s[6:7], v[2:3] op_sel:[0,0,1] op_sel_hi:[1,0,0] neg_lo:[0,0,1] neg_hi:[0,0,1]
	v_mov_b32_e32 v8, v4
	v_mov_b32_e32 v9, v7
	;; [unrolled: 1-line block ×3, first 2 shown]
	v_pk_add_f32 v[76:77], v[70:71], v[48:49] neg_lo:[0,1] neg_hi:[0,1]
	v_mov_b32_e32 v10, v0
	v_mov_b32_e32 v11, v3
	v_pk_add_f32 v[8:9], v[46:47], v[8:9]
	v_mov_b32_e32 v59, v13
	v_pk_add_f32 v[74:75], v[70:71], v[48:49]
	v_pk_add_f32 v[12:13], v[10:11], v[8:9]
	s_mov_b32 s12, 0x3df6dbef
	v_pk_mul_f32 v[10:11], v[76:77], s[28:29] op_sel_hi:[1,0]
	v_mov_b32_e32 v55, v17
	v_pk_fma_f32 v[8:9], v[74:75], s[12:13], v[10:11] op_sel:[0,0,1] op_sel_hi:[1,0,0]
	v_pk_fma_f32 v[10:11], v[74:75], s[12:13], v[10:11] op_sel:[0,0,1] op_sel_hi:[1,0,0] neg_lo:[0,0,1] neg_hi:[0,0,1]
	v_pk_add_f32 v[62:63], v[46:47], v[62:63]
	v_mov_b32_e32 v53, v15
	v_pk_add_f32 v[68:69], v[66:67], v[54:55] neg_lo:[0,1] neg_hi:[0,1]
	v_mov_b32_e32 v14, v8
	v_mov_b32_e32 v15, v11
	v_pk_add_f32 v[62:63], v[62:63], v[64:65]
	v_pk_add_f32 v[16:17], v[14:15], v[12:13]
	;; [unrolled: 1-line block ×3, first 2 shown]
	v_pk_mul_f32 v[14:15], v[68:69], s[16:17] op_sel_hi:[1,0]
	v_pk_add_f32 v[62:63], v[62:63], v[70:71]
	v_pk_fma_f32 v[12:13], v[90:91], s[14:15], v[14:15] op_sel:[0,0,1] op_sel_hi:[1,0,0]
	v_pk_fma_f32 v[14:15], v[90:91], s[14:15], v[14:15] op_sel:[0,0,1] op_sel_hi:[1,0,0] neg_lo:[0,0,1] neg_hi:[0,0,1]
	v_pk_add_f32 v[62:63], v[62:63], v[66:67]
	v_mov_b32_e32 v18, v12
	v_mov_b32_e32 v19, v15
	v_pk_add_f32 v[92:93], v[56:57], v[52:53] neg_lo:[0,1] neg_hi:[0,1]
	v_pk_add_f32 v[94:95], v[56:57], v[52:53]
	v_pk_add_f32 v[56:57], v[62:63], v[56:57]
	;; [unrolled: 1-line block ×3, first 2 shown]
	v_pk_mul_f32 v[18:19], v[92:93], s[20:21] op_sel_hi:[1,0]
	v_pk_add_f32 v[56:57], v[56:57], v[60:61]
	v_pk_fma_f32 v[16:17], v[94:95], s[18:19], v[18:19] op_sel:[0,0,1] op_sel_hi:[1,0,0]
	v_pk_fma_f32 v[18:19], v[94:95], s[18:19], v[18:19] op_sel:[0,0,1] op_sel_hi:[1,0,0] neg_lo:[0,0,1] neg_hi:[0,0,1]
	v_pk_add_f32 v[56:57], v[56:57], v[58:59]
	v_mov_b32_e32 v22, v16
	v_mov_b32_e32 v23, v19
	v_pk_add_f32 v[96:97], v[60:61], v[58:59] neg_lo:[0,1] neg_hi:[0,1]
	v_pk_add_f32 v[52:53], v[56:57], v[52:53]
	v_lshrrev_b32_e32 v0, 2, v24
	v_pk_add_f32 v[72:73], v[22:23], v[20:21]
	v_pk_add_f32 v[98:99], v[60:61], v[58:59]
	v_pk_mul_f32 v[22:23], v[96:97], s[24:25] op_sel_hi:[1,0]
	v_pk_add_f32 v[52:53], v[52:53], v[54:55]
	v_mul_u32_u24_e32 v0, 52, v0
	v_pk_fma_f32 v[20:21], v[98:99], s[22:23], v[22:23] op_sel:[0,0,1] op_sel_hi:[1,0,0]
	v_pk_fma_f32 v[22:23], v[98:99], s[22:23], v[22:23] op_sel:[0,0,1] op_sel_hi:[1,0,0] neg_lo:[0,0,1] neg_hi:[0,0,1]
	v_pk_add_f32 v[48:49], v[52:53], v[48:49]
	v_or_b32_e32 v0, v0, v41
	v_mov_b32_e32 v102, v20
	v_mov_b32_e32 v103, v23
	v_pk_add_f32 v[48:49], v[48:49], v[50:51]
	v_lshlrev_b32_e32 v0, 3, v0
	v_pk_add_f32 v[72:73], v[102:103], v[72:73]
	v_add3_u32 v8, 0, v0, v39
	v_pk_add_f32 v[48:49], v[48:49], v[100:101]
	v_pk_mul_f32 v[50:51], v[84:85], s[10:11] op_sel_hi:[1,0]
	ds_write2_b64 v8, v[48:49], v[72:73] offset1:4
	v_pk_fma_f32 v[48:49], v[86:87], s[6:7], v[50:51] op_sel:[0,0,1] op_sel_hi:[1,0,0]
	v_pk_fma_f32 v[50:51], v[86:87], s[6:7], v[50:51] op_sel:[0,0,1] op_sel_hi:[1,0,0] neg_lo:[0,0,1] neg_hi:[0,0,1]
	v_mov_b32_e32 v52, v48
	v_mov_b32_e32 v53, v51
	v_pk_mul_f32 v[54:55], v[88:89], s[16:17] op_sel_hi:[1,0]
	v_pk_add_f32 v[56:57], v[46:47], v[52:53]
	v_pk_fma_f32 v[52:53], v[78:79], s[14:15], v[54:55] op_sel:[0,0,1] op_sel_hi:[1,0,0]
	v_pk_fma_f32 v[54:55], v[78:79], s[14:15], v[54:55] op_sel:[0,0,1] op_sel_hi:[1,0,0] neg_lo:[0,0,1] neg_hi:[0,0,1]
	v_mov_b32_e32 v58, v52
	v_mov_b32_e32 v59, v55
	v_pk_add_f32 v[60:61], v[58:59], v[56:57]
	v_pk_mul_f32 v[58:59], v[76:77], s[24:25] op_sel_hi:[1,0]
	v_pk_mul_f32 v[108:109], v[88:89], s[24:25] op_sel_hi:[1,0]
	v_pk_fma_f32 v[56:57], v[74:75], s[22:23], v[58:59] op_sel:[0,0,1] op_sel_hi:[1,0,0]
	v_pk_fma_f32 v[58:59], v[74:75], s[22:23], v[58:59] op_sel:[0,0,1] op_sel_hi:[1,0,0] neg_lo:[0,0,1] neg_hi:[0,0,1]
	v_mov_b32_e32 v62, v56
	v_mov_b32_e32 v63, v59
	v_pk_add_f32 v[64:65], v[62:63], v[60:61]
	v_pk_mul_f32 v[62:63], v[68:69], s[34:35] op_sel_hi:[1,0]
	v_pk_fma_f32 v[110:111], v[78:79], s[22:23], v[108:109] op_sel:[0,0,1] op_sel_hi:[1,0,0]
	v_pk_fma_f32 v[60:61], v[90:91], s[18:19], v[62:63] op_sel:[0,0,1] op_sel_hi:[1,0,0]
	v_pk_fma_f32 v[62:63], v[90:91], s[18:19], v[62:63] op_sel:[0,0,1] op_sel_hi:[1,0,0] neg_lo:[0,0,1] neg_hi:[0,0,1]
	v_mov_b32_e32 v66, v60
	v_mov_b32_e32 v67, v63
	v_pk_add_f32 v[70:71], v[66:67], v[64:65]
	v_pk_mul_f32 v[66:67], v[92:93], s[26:27] op_sel_hi:[1,0]
	v_pk_fma_f32 v[108:109], v[78:79], s[22:23], v[108:109] op_sel:[0,0,1] op_sel_hi:[1,0,0] neg_lo:[0,0,1] neg_hi:[0,0,1]
	v_pk_fma_f32 v[64:65], v[94:95], s[12:13], v[66:67] op_sel:[0,0,1] op_sel_hi:[1,0,0]
	v_pk_fma_f32 v[66:67], v[94:95], s[12:13], v[66:67] op_sel:[0,0,1] op_sel_hi:[1,0,0] neg_lo:[0,0,1] neg_hi:[0,0,1]
	v_mov_b32_e32 v72, v64
	v_mov_b32_e32 v73, v67
	v_pk_add_f32 v[100:101], v[72:73], v[70:71]
	v_pk_mul_f32 v[72:73], v[96:97], s[30:31] op_sel_hi:[1,0]
	v_mov_b32_e32 v112, v110
	v_pk_fma_f32 v[70:71], v[98:99], s[8:9], v[72:73] op_sel:[0,0,1] op_sel_hi:[1,0,0]
	v_pk_fma_f32 v[72:73], v[98:99], s[8:9], v[72:73] op_sel:[0,0,1] op_sel_hi:[1,0,0] neg_lo:[0,0,1] neg_hi:[0,0,1]
	v_mov_b32_e32 v102, v70
	v_mov_b32_e32 v103, v73
	v_pk_add_f32 v[100:101], v[102:103], v[100:101]
	v_pk_mul_f32 v[102:103], v[84:85], s[28:29] op_sel_hi:[1,0]
	v_mov_b32_e32 v113, v109
	v_pk_fma_f32 v[104:105], v[86:87], s[12:13], v[102:103] op_sel:[0,0,1] op_sel_hi:[1,0,0]
	v_pk_fma_f32 v[102:103], v[86:87], s[12:13], v[102:103] op_sel:[0,0,1] op_sel_hi:[1,0,0] neg_lo:[0,0,1] neg_hi:[0,0,1]
	v_mov_b32_e32 v106, v104
	v_mov_b32_e32 v107, v103
	v_pk_add_f32 v[106:107], v[46:47], v[106:107]
	v_pk_mul_f32 v[130:131], v[88:89], s[34:35] op_sel_hi:[1,0]
	v_pk_add_f32 v[106:107], v[112:113], v[106:107]
	v_pk_mul_f32 v[112:113], v[76:77], s[36:37] op_sel_hi:[1,0]
	v_pk_fma_f32 v[132:133], v[78:79], s[18:19], v[130:131] op_sel:[0,0,1] op_sel_hi:[1,0,0]
	v_pk_fma_f32 v[114:115], v[74:75], s[14:15], v[112:113] op_sel:[0,0,1] op_sel_hi:[1,0,0]
	v_pk_fma_f32 v[112:113], v[74:75], s[14:15], v[112:113] op_sel:[0,0,1] op_sel_hi:[1,0,0] neg_lo:[0,0,1] neg_hi:[0,0,1]
	v_mov_b32_e32 v116, v114
	v_mov_b32_e32 v117, v113
	v_pk_add_f32 v[106:107], v[116:117], v[106:107]
	v_pk_mul_f32 v[116:117], v[68:69], s[30:31] op_sel_hi:[1,0]
	v_pk_fma_f32 v[130:131], v[78:79], s[18:19], v[130:131] op_sel:[0,0,1] op_sel_hi:[1,0,0] neg_lo:[0,0,1] neg_hi:[0,0,1]
	v_pk_fma_f32 v[118:119], v[90:91], s[8:9], v[116:117] op_sel:[0,0,1] op_sel_hi:[1,0,0]
	v_pk_fma_f32 v[116:117], v[90:91], s[8:9], v[116:117] op_sel:[0,0,1] op_sel_hi:[1,0,0] neg_lo:[0,0,1] neg_hi:[0,0,1]
	v_mov_b32_e32 v120, v118
	v_mov_b32_e32 v121, v117
	v_pk_add_f32 v[106:107], v[120:121], v[106:107]
	v_pk_mul_f32 v[120:121], v[92:93], s[10:11] op_sel_hi:[1,0]
	v_mov_b32_e32 v134, v132
	v_pk_fma_f32 v[122:123], v[94:95], s[6:7], v[120:121] op_sel:[0,0,1] op_sel_hi:[1,0,0]
	v_pk_fma_f32 v[120:121], v[94:95], s[6:7], v[120:121] op_sel:[0,0,1] op_sel_hi:[1,0,0] neg_lo:[0,0,1] neg_hi:[0,0,1]
	v_mov_b32_e32 v124, v122
	v_mov_b32_e32 v125, v121
	v_pk_add_f32 v[106:107], v[124:125], v[106:107]
	v_pk_mul_f32 v[124:125], v[96:97], s[20:21] op_sel_hi:[1,0]
	v_mov_b32_e32 v135, v131
	v_pk_fma_f32 v[126:127], v[98:99], s[18:19], v[124:125] op_sel:[0,0,1] op_sel_hi:[1,0,0]
	v_pk_fma_f32 v[124:125], v[98:99], s[18:19], v[124:125] op_sel:[0,0,1] op_sel_hi:[1,0,0] neg_lo:[0,0,1] neg_hi:[0,0,1]
	v_mov_b32_e32 v128, v126
	v_mov_b32_e32 v129, v125
	v_pk_add_f32 v[106:107], v[128:129], v[106:107]
	ds_write2_b64 v8, v[100:101], v[106:107] offset0:8 offset1:12
	v_pk_mul_f32 v[100:101], v[84:85], s[16:17] op_sel_hi:[1,0]
	s_mov_b32 s34, 0x3f52af12
	v_pk_fma_f32 v[106:107], v[86:87], s[14:15], v[100:101] op_sel:[0,0,1] op_sel_hi:[1,0,0]
	v_pk_fma_f32 v[100:101], v[86:87], s[14:15], v[100:101] op_sel:[0,0,1] op_sel_hi:[1,0,0] neg_lo:[0,0,1] neg_hi:[0,0,1]
	v_mov_b32_e32 v128, v106
	v_mov_b32_e32 v129, v101
	v_pk_add_f32 v[128:129], v[46:47], v[128:129]
	v_pk_mul_f32 v[156:157], v[88:89], s[26:27] op_sel_hi:[1,0]
	v_pk_add_f32 v[128:129], v[134:135], v[128:129]
	v_pk_mul_f32 v[134:135], v[76:77], s[30:31] op_sel_hi:[1,0]
	v_pk_fma_f32 v[158:159], v[78:79], s[12:13], v[156:157] op_sel:[0,0,1] op_sel_hi:[1,0,0]
	v_pk_fma_f32 v[136:137], v[74:75], s[8:9], v[134:135] op_sel:[0,0,1] op_sel_hi:[1,0,0]
	v_pk_fma_f32 v[134:135], v[74:75], s[8:9], v[134:135] op_sel:[0,0,1] op_sel_hi:[1,0,0] neg_lo:[0,0,1] neg_hi:[0,0,1]
	v_mov_b32_e32 v138, v136
	v_mov_b32_e32 v139, v135
	v_pk_add_f32 v[128:129], v[138:139], v[128:129]
	v_pk_mul_f32 v[138:139], v[68:69], s[28:29] op_sel_hi:[1,0]
	s_mov_b32 s28, 0x3e750f2a
	v_pk_fma_f32 v[140:141], v[90:91], s[12:13], v[138:139] op_sel:[0,0,1] op_sel_hi:[1,0,0]
	v_pk_fma_f32 v[138:139], v[90:91], s[12:13], v[138:139] op_sel:[0,0,1] op_sel_hi:[1,0,0] neg_lo:[0,0,1] neg_hi:[0,0,1]
	v_mov_b32_e32 v142, v140
	v_mov_b32_e32 v143, v139
	v_pk_add_f32 v[128:129], v[142:143], v[128:129]
	v_pk_mul_f32 v[142:143], v[92:93], s[28:29] op_sel_hi:[1,0]
	v_pk_fma_f32 v[156:157], v[78:79], s[12:13], v[156:157] op_sel:[0,0,1] op_sel_hi:[1,0,0] neg_lo:[0,0,1] neg_hi:[0,0,1]
	v_pk_fma_f32 v[144:145], v[94:95], s[22:23], v[142:143] op_sel:[0,0,1] op_sel_hi:[1,0,0]
	v_pk_fma_f32 v[142:143], v[94:95], s[22:23], v[142:143] op_sel:[0,0,1] op_sel_hi:[1,0,0] neg_lo:[0,0,1] neg_hi:[0,0,1]
	v_mov_b32_e32 v146, v144
	v_mov_b32_e32 v147, v143
	v_pk_add_f32 v[128:129], v[146:147], v[128:129]
	v_pk_mul_f32 v[146:147], v[96:97], s[34:35] op_sel_hi:[1,0]
	v_mov_b32_e32 v160, v158
	v_pk_fma_f32 v[148:149], v[98:99], s[6:7], v[146:147] op_sel:[0,0,1] op_sel_hi:[1,0,0]
	v_pk_fma_f32 v[146:147], v[98:99], s[6:7], v[146:147] op_sel:[0,0,1] op_sel_hi:[1,0,0] neg_lo:[0,0,1] neg_hi:[0,0,1]
	v_mov_b32_e32 v150, v148
	v_mov_b32_e32 v151, v147
	v_pk_add_f32 v[128:129], v[150:151], v[128:129]
	v_pk_mul_f32 v[150:151], v[84:85], s[20:21] op_sel_hi:[1,0]
	v_mov_b32_e32 v161, v157
	v_pk_fma_f32 v[152:153], v[86:87], s[18:19], v[150:151] op_sel:[0,0,1] op_sel_hi:[1,0,0]
	v_pk_fma_f32 v[150:151], v[86:87], s[18:19], v[150:151] op_sel:[0,0,1] op_sel_hi:[1,0,0] neg_lo:[0,0,1] neg_hi:[0,0,1]
	v_mov_b32_e32 v154, v152
	v_mov_b32_e32 v155, v151
	v_pk_add_f32 v[154:155], v[46:47], v[154:155]
	v_pk_mul_f32 v[84:85], v[84:85], s[24:25] op_sel_hi:[1,0]
	v_pk_add_f32 v[154:155], v[160:161], v[154:155]
	v_pk_mul_f32 v[160:161], v[76:77], s[10:11] op_sel_hi:[1,0]
	v_pk_mul_f32 v[76:77], v[76:77], s[20:21] op_sel_hi:[1,0]
	v_pk_fma_f32 v[162:163], v[74:75], s[6:7], v[160:161] op_sel:[0,0,1] op_sel_hi:[1,0,0]
	v_pk_fma_f32 v[160:161], v[74:75], s[6:7], v[160:161] op_sel:[0,0,1] op_sel_hi:[1,0,0] neg_lo:[0,0,1] neg_hi:[0,0,1]
	v_mov_b32_e32 v164, v162
	v_mov_b32_e32 v165, v161
	v_pk_add_f32 v[154:155], v[164:165], v[154:155]
	v_pk_mul_f32 v[164:165], v[68:69], s[28:29] op_sel_hi:[1,0]
	v_pk_mul_f32 v[68:69], v[68:69], s[34:35] op_sel_hi:[1,0]
	v_pk_fma_f32 v[166:167], v[90:91], s[22:23], v[164:165] op_sel:[0,0,1] op_sel_hi:[1,0,0]
	v_pk_fma_f32 v[164:165], v[90:91], s[22:23], v[164:165] op_sel:[0,0,1] op_sel_hi:[1,0,0] neg_lo:[0,0,1] neg_hi:[0,0,1]
	v_mov_b32_e32 v168, v166
	v_mov_b32_e32 v169, v165
	v_pk_add_f32 v[154:155], v[168:169], v[154:155]
	v_pk_mul_f32 v[168:169], v[92:93], s[30:31] op_sel_hi:[1,0]
	v_mov_b32_e32 v151, v153
	v_pk_fma_f32 v[170:171], v[94:95], s[8:9], v[168:169] op_sel:[0,0,1] op_sel_hi:[1,0,0]
	v_pk_fma_f32 v[168:169], v[94:95], s[8:9], v[168:169] op_sel:[0,0,1] op_sel_hi:[1,0,0] neg_lo:[0,0,1] neg_hi:[0,0,1]
	v_mov_b32_e32 v172, v170
	v_mov_b32_e32 v173, v169
	v_pk_add_f32 v[154:155], v[172:173], v[154:155]
	v_pk_mul_f32 v[172:173], v[96:97], s[16:17] op_sel_hi:[1,0]
	v_mov_b32_e32 v101, v107
	v_pk_fma_f32 v[174:175], v[98:99], s[14:15], v[172:173] op_sel:[0,0,1] op_sel_hi:[1,0,0]
	v_pk_fma_f32 v[172:173], v[98:99], s[14:15], v[172:173] op_sel:[0,0,1] op_sel_hi:[1,0,0] neg_lo:[0,0,1] neg_hi:[0,0,1]
	v_mov_b32_e32 v176, v174
	v_mov_b32_e32 v177, v173
	v_pk_add_f32 v[154:155], v[176:177], v[154:155]
	ds_write2_b64 v8, v[128:129], v[154:155] offset0:16 offset1:20
	v_pk_fma_f32 v[128:129], v[86:87], s[22:23], v[84:85] op_sel:[0,0,1] op_sel_hi:[1,0,0]
	v_pk_fma_f32 v[84:85], v[86:87], s[22:23], v[84:85] op_sel:[0,0,1] op_sel_hi:[1,0,0] neg_lo:[0,0,1] neg_hi:[0,0,1]
	v_pk_mul_f32 v[86:87], v[88:89], s[30:31] op_sel_hi:[1,0]
	v_mov_b32_e32 v157, v159
	v_pk_fma_f32 v[88:89], v[78:79], s[8:9], v[86:87] op_sel:[0,0,1] op_sel_hi:[1,0,0]
	v_pk_fma_f32 v[78:79], v[78:79], s[8:9], v[86:87] op_sel:[0,0,1] op_sel_hi:[1,0,0] neg_lo:[0,0,1] neg_hi:[0,0,1]
	v_mov_b32_e32 v86, v128
	v_mov_b32_e32 v87, v85
	v_pk_add_f32 v[86:87], v[46:47], v[86:87]
	v_mov_b32_e32 v154, v88
	v_mov_b32_e32 v155, v79
	v_pk_add_f32 v[86:87], v[154:155], v[86:87]
	v_pk_fma_f32 v[154:155], v[74:75], s[18:19], v[76:77] op_sel:[0,0,1] op_sel_hi:[1,0,0]
	v_pk_fma_f32 v[74:75], v[74:75], s[18:19], v[76:77] op_sel:[0,0,1] op_sel_hi:[1,0,0] neg_lo:[0,0,1] neg_hi:[0,0,1]
	v_mov_b32_e32 v76, v154
	v_mov_b32_e32 v77, v75
	v_pk_add_f32 v[76:77], v[76:77], v[86:87]
	v_pk_fma_f32 v[86:87], v[90:91], s[6:7], v[68:69] op_sel:[0,0,1] op_sel_hi:[1,0,0]
	v_pk_fma_f32 v[68:69], v[90:91], s[6:7], v[68:69] op_sel:[0,0,1] op_sel_hi:[1,0,0] neg_lo:[0,0,1] neg_hi:[0,0,1]
	v_mov_b32_e32 v90, v86
	v_mov_b32_e32 v91, v69
	v_pk_add_f32 v[76:77], v[90:91], v[76:77]
	v_pk_mul_f32 v[90:91], v[92:93], s[16:17] op_sel_hi:[1,0]
	v_mov_b32_e32 v85, v129
	v_pk_fma_f32 v[92:93], v[94:95], s[14:15], v[90:91] op_sel:[0,0,1] op_sel_hi:[1,0,0]
	v_pk_fma_f32 v[90:91], v[94:95], s[14:15], v[90:91] op_sel:[0,0,1] op_sel_hi:[1,0,0] neg_lo:[0,0,1] neg_hi:[0,0,1]
	v_mov_b32_e32 v79, v89
	v_pk_add_f32 v[84:85], v[46:47], v[84:85]
	v_mov_b32_e32 v94, v92
	v_mov_b32_e32 v95, v91
	v_pk_add_f32 v[78:79], v[78:79], v[84:85]
	v_mov_b32_e32 v75, v155
	v_pk_add_f32 v[76:77], v[94:95], v[76:77]
	v_pk_mul_f32 v[94:95], v[96:97], s[26:27] op_sel_hi:[1,0]
	v_pk_add_f32 v[74:75], v[74:75], v[78:79]
	v_mov_b32_e32 v69, v87
	v_pk_fma_f32 v[96:97], v[98:99], s[12:13], v[94:95] op_sel:[0,0,1] op_sel_hi:[1,0,0]
	v_pk_fma_f32 v[94:95], v[98:99], s[12:13], v[94:95] op_sel:[0,0,1] op_sel_hi:[1,0,0] neg_lo:[0,0,1] neg_hi:[0,0,1]
	v_pk_add_f32 v[68:69], v[68:69], v[74:75]
	v_mov_b32_e32 v91, v93
	v_mov_b32_e32 v98, v96
	;; [unrolled: 1-line block ×3, first 2 shown]
	v_pk_add_f32 v[68:69], v[90:91], v[68:69]
	v_mov_b32_e32 v95, v97
	v_pk_add_f32 v[76:77], v[98:99], v[76:77]
	v_pk_add_f32 v[68:69], v[94:95], v[68:69]
	ds_write2_b64 v8, v[76:77], v[68:69] offset0:24 offset1:28
	v_pk_add_f32 v[68:69], v[46:47], v[150:151]
	v_mov_b32_e32 v131, v133
	v_pk_add_f32 v[74:75], v[46:47], v[100:101]
	v_pk_add_f32 v[68:69], v[156:157], v[68:69]
	v_mov_b32_e32 v161, v163
	v_pk_add_f32 v[74:75], v[130:131], v[74:75]
	v_mov_b32_e32 v135, v137
	v_pk_add_f32 v[68:69], v[160:161], v[68:69]
	v_mov_b32_e32 v165, v167
	v_pk_add_f32 v[74:75], v[134:135], v[74:75]
	v_mov_b32_e32 v139, v141
	v_pk_add_f32 v[68:69], v[164:165], v[68:69]
	v_mov_b32_e32 v169, v171
	v_pk_add_f32 v[74:75], v[138:139], v[74:75]
	v_mov_b32_e32 v143, v145
	v_pk_add_f32 v[68:69], v[168:169], v[68:69]
	v_mov_b32_e32 v173, v175
	v_pk_add_f32 v[74:75], v[142:143], v[74:75]
	v_mov_b32_e32 v147, v149
	v_pk_add_f32 v[68:69], v[172:173], v[68:69]
	v_pk_add_f32 v[74:75], v[146:147], v[74:75]
	v_mov_b32_e32 v103, v105
	v_mov_b32_e32 v51, v49
	;; [unrolled: 1-line block ×3, first 2 shown]
	ds_write2_b64 v8, v[68:69], v[74:75] offset0:32 offset1:36
	v_mov_b32_e32 v109, v111
	v_pk_add_f32 v[68:69], v[46:47], v[102:103]
	v_pk_add_f32 v[48:49], v[46:47], v[50:51]
	v_mov_b32_e32 v55, v53
	v_pk_add_f32 v[4:5], v[46:47], v[6:7]
	v_mov_b32_e32 v3, v1
	;; [unrolled: 2-line block ×14, first 2 shown]
	v_pk_add_f32 v[68:69], v[124:125], v[68:69]
	v_pk_add_f32 v[48:49], v[72:73], v[48:49]
	;; [unrolled: 1-line block ×3, first 2 shown]
	ds_write2_b64 v8, v[68:69], v[48:49] offset0:40 offset1:44
	ds_write_b64 v8, v[0:1] offset:384
.LBB0_16:
	s_or_b64 exec, exec, s[2:3]
	s_movk_i32 s2, 0x4ec5
	v_mul_u32_u24_sdwa v2, v31, s2 dst_sel:DWORD dst_unused:UNUSED_PAD src0_sel:WORD_0 src1_sel:DWORD
	v_mul_u32_u24_sdwa v41, v34, s2 dst_sel:DWORD dst_unused:UNUSED_PAD src0_sel:WORD_0 src1_sel:DWORD
	;; [unrolled: 1-line block ×3, first 2 shown]
	v_lshrrev_b32_e32 v52, 20, v2
	v_lshrrev_b32_e32 v43, 20, v41
	;; [unrolled: 1-line block ×3, first 2 shown]
	v_mul_lo_u16_e32 v2, 52, v52
	s_movk_i32 s2, 0x4f
	v_mul_lo_u16_e32 v0, 52, v43
	v_mul_lo_u16_e32 v1, 52, v45
	v_sub_u16_e32 v2, v31, v2
	v_mul_lo_u16_sdwa v60, v36, s2 dst_sel:DWORD dst_unused:UNUSED_PAD src0_sel:BYTE_0 src1_sel:DWORD
	v_sub_u16_e32 v0, v34, v0
	v_sub_u16_e32 v1, v30, v1
	v_lshlrev_b32_e32 v31, 3, v2
	v_lshrrev_b16_e32 v55, 12, v60
	s_waitcnt lgkmcnt(0)
	s_barrier
	global_load_dwordx2 v[14:15], v31, s[4:5] offset:400
	v_lshlrev_b32_e32 v53, 3, v0
	v_lshlrev_b32_e32 v54, 3, v1
	v_mul_lo_u16_e32 v0, 52, v55
	global_load_dwordx2 v[16:17], v54, s[4:5] offset:400
	global_load_dwordx2 v[18:19], v53, s[4:5] offset:400
	v_sub_u16_e32 v0, v36, v0
	v_mov_b32_e32 v61, 3
	v_lshlrev_b32_sdwa v56, v61, v0 dst_sel:DWORD dst_unused:UNUSED_PAD src0_sel:DWORD src1_sel:BYTE_0
	v_mul_lo_u16_sdwa v0, v28, s2 dst_sel:DWORD dst_unused:UNUSED_PAD src0_sel:BYTE_0 src1_sel:DWORD
	v_lshrrev_b16_e32 v57, 12, v0
	v_mul_lo_u16_e32 v0, 52, v57
	global_load_dwordx2 v[20:21], v56, s[4:5] offset:400
	v_sub_u16_e32 v0, v28, v0
	v_lshlrev_b32_sdwa v58, v61, v0 dst_sel:DWORD dst_unused:UNUSED_PAD src0_sel:DWORD src1_sel:BYTE_0
	global_load_dwordx2 v[22:23], v58, s[4:5] offset:400
	v_subrev_u32_e32 v0, 52, v24
	v_cmp_gt_u32_e32 vcc, 52, v24
	v_mov_b32_e32 v1, 0
	v_add_u32_e32 v66, 0xc00, v29
	v_cndmask_b32_e32 v0, v0, v24, vcc
	v_lshl_add_u64 v[2:3], v[0:1], 3, s[4:5]
	global_load_dwordx2 v[46:47], v[2:3], off offset:400
	v_add_u32_e32 v67, 0x1000, v29
	v_add_u32_e32 v68, 0x1800, v29
	s_mov_b32 s3, 0x5040100
	ds_read_b64 v[48:49], v82
	ds_read_b64 v[50:51], v83
	ds_read2_b64 v[2:5], v66 offset0:84 offset1:162
	ds_read2_b64 v[6:9], v67 offset0:112 offset1:190
	ds_read2_b64 v[10:13], v68 offset0:12 offset1:90
	s_movk_i32 s2, 0x340
	v_perm_b32 v45, v52, v45, s3
	v_pk_mul_lo_u16 v45, v45, s2 op_sel_hi:[1,0]
	v_mov_b32_e32 v59, 0x340
	v_cmp_lt_u32_e32 vcc, 51, v24
	v_and_b32_e32 v52, 0xffc0, v45
	v_mad_u32_u24 v55, v55, s2, 0
	v_cndmask_b32_e32 v59, 0, v59, vcc
	v_mad_u32_u24 v43, v43, s2, 0
	v_add_u32_sdwa v45, v1, v45 dst_sel:DWORD dst_unused:UNUSED_PAD src0_sel:DWORD src1_sel:WORD_1
	v_add_u32_e32 v52, 0, v52
	v_add_u32_e32 v59, 0, v59
	v_lshlrev_b32_e32 v0, 3, v0
	v_mad_u32_u24 v57, v57, s2, 0
	v_add3_u32 v63, v55, v56, v39
	v_add3_u32 v43, v43, v53, v39
	;; [unrolled: 1-line block ×6, first 2 shown]
	v_cmp_gt_u32_e32 vcc, 26, v24
	s_movk_i32 s3, 0x9c0
	s_mov_b32 s2, 0x3f5db3d7
	s_waitcnt vmcnt(5) lgkmcnt(0)
	v_pk_mul_f32 v[52:53], v[12:13], v[14:15] op_sel:[0,1]
	s_nop 0
	v_pk_fma_f32 v[58:59], v[12:13], v[14:15], v[52:53] op_sel:[0,0,1] op_sel_hi:[1,1,0]
	v_pk_fma_f32 v[12:13], v[12:13], v[14:15], v[52:53] op_sel:[0,0,1] op_sel_hi:[1,0,0] neg_lo:[0,0,1] neg_hi:[0,0,1]
	s_waitcnt vmcnt(4)
	v_pk_mul_f32 v[54:55], v[16:17], v[10:11] op_sel:[0,1]
	s_waitcnt vmcnt(3)
	v_pk_mul_f32 v[56:57], v[18:19], v[8:9] op_sel:[0,1]
	v_pk_fma_f32 v[14:15], v[16:17], v[10:11], v[54:55] op_sel:[0,0,1] op_sel_hi:[1,1,0]
	v_pk_fma_f32 v[10:11], v[16:17], v[10:11], v[54:55] op_sel:[0,0,1] op_sel_hi:[1,0,0] neg_lo:[1,0,0] neg_hi:[1,0,0]
	v_pk_fma_f32 v[16:17], v[18:19], v[8:9], v[56:57] op_sel:[0,0,1] op_sel_hi:[1,1,0]
	v_mov_b32_e32 v15, v11
	v_pk_fma_f32 v[8:9], v[18:19], v[8:9], v[56:57] op_sel:[0,0,1] op_sel_hi:[1,0,0] neg_lo:[1,0,0] neg_hi:[1,0,0]
	v_mov_b32_e32 v59, v13
	ds_read_b64 v[10:11], v33
	v_pk_add_f32 v[12:13], v[50:51], v[14:15] neg_lo:[0,1] neg_hi:[0,1]
	ds_read_b64 v[14:15], v35
	v_mov_b32_e32 v17, v9
	v_pk_add_f32 v[8:9], v[48:49], v[58:59] neg_lo:[0,1] neg_hi:[0,1]
	s_nop 0
	v_pk_fma_f32 v[18:19], v[48:49], 2.0, v[8:9] op_sel_hi:[1,0,1] neg_lo:[0,0,1] neg_hi:[0,0,1]
	v_pk_fma_f32 v[48:49], v[50:51], 2.0, v[12:13] op_sel_hi:[1,0,1] neg_lo:[0,0,1] neg_hi:[0,0,1]
	s_waitcnt vmcnt(2)
	v_pk_mul_f32 v[50:51], v[20:21], v[6:7] op_sel:[0,1]
	s_nop 0
	v_pk_fma_f32 v[52:53], v[20:21], v[6:7], v[50:51] op_sel:[0,0,1] op_sel_hi:[1,1,0]
	v_pk_fma_f32 v[6:7], v[20:21], v[6:7], v[50:51] op_sel:[0,0,1] op_sel_hi:[1,0,0] neg_lo:[1,0,0] neg_hi:[1,0,0]
	s_waitcnt vmcnt(1)
	v_pk_mul_f32 v[50:51], v[22:23], v[4:5] op_sel:[0,1]
	v_mov_b32_e32 v53, v7
	ds_read_b64 v[6:7], v37
	s_waitcnt lgkmcnt(1)
	v_pk_add_f32 v[20:21], v[14:15], v[52:53] neg_lo:[0,1] neg_hi:[0,1]
	v_pk_fma_f32 v[52:53], v[22:23], v[4:5], v[50:51] op_sel:[0,0,1] op_sel_hi:[1,1,0]
	v_pk_fma_f32 v[4:5], v[22:23], v[4:5], v[50:51] op_sel:[0,0,1] op_sel_hi:[1,0,0] neg_lo:[1,0,0] neg_hi:[1,0,0]
	s_waitcnt vmcnt(0)
	v_pk_mul_f32 v[50:51], v[46:47], v[2:3] op_sel:[0,1]
	v_mov_b32_e32 v53, v5
	ds_read_b64 v[4:5], v80
	s_waitcnt lgkmcnt(1)
	v_pk_add_f32 v[22:23], v[6:7], v[52:53] neg_lo:[0,1] neg_hi:[0,1]
	v_pk_fma_f32 v[52:53], v[46:47], v[2:3], v[50:51] op_sel:[0,0,1] op_sel_hi:[1,1,0]
	v_pk_fma_f32 v[2:3], v[46:47], v[2:3], v[50:51] op_sel:[0,0,1] op_sel_hi:[1,0,0] neg_lo:[1,0,0] neg_hi:[1,0,0]
	v_pk_add_f32 v[16:17], v[10:11], v[16:17] neg_lo:[0,1] neg_hi:[0,1]
	v_mov_b32_e32 v53, v3
	s_waitcnt lgkmcnt(0)
	v_pk_add_f32 v[2:3], v[4:5], v[52:53] neg_lo:[0,1] neg_hi:[0,1]
	v_pk_fma_f32 v[10:11], v[10:11], 2.0, v[16:17] op_sel_hi:[1,0,1] neg_lo:[0,0,1] neg_hi:[0,0,1]
	v_pk_fma_f32 v[4:5], v[4:5], 2.0, v[2:3] op_sel_hi:[1,0,1] neg_lo:[0,0,1] neg_hi:[0,0,1]
	;; [unrolled: 1-line block ×4, first 2 shown]
	s_barrier
	ds_write2_b64 v0, v[4:5], v[2:3] offset1:52
	ds_write2_b64 v62, v[6:7], v[22:23] offset1:52
	;; [unrolled: 1-line block ×6, first 2 shown]
	v_mov_b32_e32 v45, v1
	v_lshl_add_u64 v[2:3], v[44:45], 3, s[4:5]
	s_waitcnt lgkmcnt(0)
	s_barrier
	global_load_dwordx4 v[4:7], v[2:3], off offset:816
	v_lshrrev_b32_e32 v0, 21, v41
	v_mul_lo_u16_e32 v0, 0x68, v0
	v_sub_u16_e32 v31, v34, v0
	v_lshlrev_b32_e32 v0, 4, v31
	global_load_dwordx4 v[8:11], v0, s[4:5] offset:816
	v_lshrrev_b16_e32 v20, 13, v60
	v_mul_lo_u16_e32 v0, 0x68, v20
	v_sub_u16_e32 v21, v36, v0
	v_mov_b32_e32 v0, 4
	v_lshlrev_b32_sdwa v0, v0, v21 dst_sel:DWORD dst_unused:UNUSED_PAD src0_sel:DWORD src1_sel:BYTE_0
	global_load_dwordx4 v[12:15], v0, s[4:5] offset:816
	v_subrev_u32_e32 v0, 26, v24
	v_cndmask_b32_e32 v22, v0, v28, vcc
	v_lshlrev_b32_e32 v0, 1, v22
	v_lshl_add_u64 v[16:17], v[0:1], 3, s[4:5]
	global_load_dwordx4 v[16:19], v[16:17], off offset:816
	v_mov_b32_e32 v0, 0x9c0
	v_cmp_lt_u32_e32 vcc, 25, v24
	v_lshlrev_b32_e32 v22, 3, v22
	v_lshlrev_b32_sdwa v43, v61, v21 dst_sel:DWORD dst_unused:UNUSED_PAD src0_sel:DWORD src1_sel:BYTE_0
	v_cndmask_b32_e32 v0, 0, v0, vcc
	v_add_u32_e32 v0, 0, v0
	v_add3_u32 v41, v0, v22, v39
	v_mad_u32_u24 v0, v20, s3, 0
	ds_read2_b64 v[20:23], v67 offset0:112 offset1:190
	ds_read_b64 v[48:49], v83
	ds_read_b64 v[50:51], v82
	ds_read2_b64 v[44:47], v66 offset0:84 offset1:162
	ds_read_b64 v[52:53], v80
	ds_read_b64 v[54:55], v33
	;; [unrolled: 1-line block ×4, first 2 shown]
	v_add3_u32 v43, v0, v43, v39
	v_lshlrev_b32_e32 v0, 3, v31
	v_add3_u32 v31, 0, v0, v39
	v_mov_b32_e32 v39, v1
	v_cmp_ne_u32_e32 vcc, 0, v24
	s_waitcnt vmcnt(3) lgkmcnt(6)
	v_pk_mul_f32 v[60:61], v[4:5], v[48:49] op_sel:[0,1]
	v_pk_mul_f32 v[62:63], v[6:7], v[20:21] op_sel:[0,1]
	v_pk_fma_f32 v[64:65], v[4:5], v[48:49], v[60:61] op_sel:[0,0,1] op_sel_hi:[1,1,0]
	v_pk_fma_f32 v[4:5], v[4:5], v[48:49], v[60:61] op_sel:[0,0,1] op_sel_hi:[1,0,0] neg_lo:[1,0,0] neg_hi:[1,0,0]
	v_pk_fma_f32 v[48:49], v[6:7], v[20:21], v[62:63] op_sel:[0,0,1] op_sel_hi:[1,1,0]
	v_pk_fma_f32 v[6:7], v[6:7], v[20:21], v[62:63] op_sel:[0,0,1] op_sel_hi:[1,0,0] neg_lo:[1,0,0] neg_hi:[1,0,0]
	v_mov_b32_e32 v65, v5
	v_mov_b32_e32 v49, v7
	v_pk_add_f32 v[4:5], v[64:65], v[48:49]
	v_pk_add_f32 v[6:7], v[64:65], v[48:49] neg_lo:[0,1] neg_hi:[0,1]
	s_waitcnt lgkmcnt(3)
	v_pk_add_f32 v[20:21], v[52:53], v[64:65]
	v_pk_fma_f32 v[4:5], v[4:5], 0.5, v[52:53] op_sel_hi:[1,0,1] neg_lo:[1,0,0] neg_hi:[1,0,0]
	v_pk_mul_f32 v[6:7], v[6:7], s[2:3] op_sel_hi:[1,0]
	v_pk_add_f32 v[20:21], v[20:21], v[48:49]
	v_pk_add_f32 v[48:49], v[4:5], v[6:7] op_sel:[0,1] op_sel_hi:[1,0] neg_lo:[0,1] neg_hi:[0,1]
	v_pk_add_f32 v[52:53], v[4:5], v[6:7] op_sel:[0,1] op_sel_hi:[1,0]
	ds_read2_b64 v[4:7], v68 offset0:12 offset1:90
	s_waitcnt vmcnt(2)
	v_pk_mul_f32 v[60:61], v[46:47], v[8:9] op_sel:[0,1]
	v_mov_b32_e32 v0, v11
	v_pk_fma_f32 v[62:63], v[46:47], v[8:9], v[60:61] op_sel:[0,0,1] op_sel_hi:[1,1,0]
	v_pk_fma_f32 v[8:9], v[46:47], v[8:9], v[60:61] op_sel:[0,0,1] op_sel_hi:[1,0,0] neg_lo:[0,0,1] neg_hi:[0,0,1]
	s_waitcnt lgkmcnt(0)
	v_mov_b32_e32 v63, v9
	v_pk_mul_f32 v[8:9], v[6:7], v[0:1] op_sel_hi:[1,0]
	s_waitcnt vmcnt(1)
	v_mov_b32_e32 v0, v15
	v_pk_fma_f32 v[46:47], v[6:7], v[10:11], v[8:9] op_sel:[0,0,1] op_sel_hi:[1,1,0]
	v_pk_fma_f32 v[6:7], v[6:7], v[10:11], v[8:9] op_sel:[0,0,1] op_sel_hi:[1,0,0] neg_lo:[0,0,1] neg_hi:[0,0,1]
	v_pk_mul_f32 v[8:9], v[12:13], v[44:45] op_sel:[0,1]
	s_barrier
	v_pk_fma_f32 v[10:11], v[12:13], v[44:45], v[8:9] op_sel:[0,0,1] op_sel_hi:[1,1,0]
	v_pk_fma_f32 v[8:9], v[12:13], v[44:45], v[8:9] op_sel:[0,0,1] op_sel_hi:[1,0,0] neg_lo:[1,0,0] neg_hi:[1,0,0]
	s_nop 0
	v_mov_b32_e32 v11, v9
	v_pk_mul_f32 v[8:9], v[4:5], v[0:1] op_sel_hi:[1,0]
	v_mov_b32_e32 v47, v7
	v_pk_fma_f32 v[12:13], v[4:5], v[14:15], v[8:9] op_sel:[0,0,1] op_sel_hi:[1,1,0]
	v_pk_fma_f32 v[4:5], v[4:5], v[14:15], v[8:9] op_sel:[0,0,1] op_sel_hi:[1,0,0] neg_lo:[0,0,1] neg_hi:[0,0,1]
	s_waitcnt vmcnt(0)
	v_pk_mul_f32 v[8:9], v[16:17], v[50:51] op_sel:[0,1]
	v_mov_b32_e32 v13, v5
	v_pk_fma_f32 v[14:15], v[16:17], v[50:51], v[8:9] op_sel:[0,0,1] op_sel_hi:[1,1,0]
	v_pk_fma_f32 v[8:9], v[16:17], v[50:51], v[8:9] op_sel:[0,0,1] op_sel_hi:[1,0,0] neg_lo:[1,0,0] neg_hi:[1,0,0]
	v_pk_add_f32 v[4:5], v[56:57], v[10:11]
	v_mov_b32_e32 v15, v9
	v_pk_mul_f32 v[8:9], v[18:19], v[22:23] op_sel:[0,1]
	v_pk_add_f32 v[4:5], v[4:5], v[12:13]
	v_pk_fma_f32 v[16:17], v[18:19], v[22:23], v[8:9] op_sel:[0,0,1] op_sel_hi:[1,1,0]
	v_pk_fma_f32 v[8:9], v[18:19], v[22:23], v[8:9] op_sel:[0,0,1] op_sel_hi:[1,0,0] neg_lo:[1,0,0] neg_hi:[1,0,0]
	v_mov_b32_e32 v18, v48
	v_mov_b32_e32 v17, v9
	;; [unrolled: 1-line block ×3, first 2 shown]
	v_pk_add_f32 v[8:9], v[58:59], v[14:15]
	ds_write2_b64 v29, v[20:21], v[18:19] offset1:104
	v_pk_add_f32 v[18:19], v[14:15], v[16:17]
	v_pk_add_f32 v[14:15], v[14:15], v[16:17] neg_lo:[0,1] neg_hi:[0,1]
	v_pk_fma_f32 v[18:19], v[18:19], 0.5, v[58:59] op_sel_hi:[1,0,1] neg_lo:[1,0,0] neg_hi:[1,0,0]
	v_pk_mul_f32 v[14:15], v[14:15], s[2:3] op_sel_hi:[1,0]
	v_pk_add_f32 v[8:9], v[8:9], v[16:17]
	v_pk_add_f32 v[16:17], v[18:19], v[14:15] op_sel:[0,1] op_sel_hi:[1,0] neg_lo:[0,1] neg_hi:[0,1]
	v_pk_add_f32 v[14:15], v[18:19], v[14:15] op_sel:[0,1] op_sel_hi:[1,0]
	v_mov_b32_e32 v53, v49
	v_mov_b32_e32 v18, v16
	;; [unrolled: 1-line block ×3, first 2 shown]
	ds_write_b64 v29, v[52:53] offset:1664
	ds_write2_b64 v41, v[8:9], v[18:19] offset1:104
	v_pk_add_f32 v[8:9], v[10:11], v[12:13]
	v_pk_add_f32 v[10:11], v[10:11], v[12:13] neg_lo:[0,1] neg_hi:[0,1]
	v_pk_fma_f32 v[8:9], v[8:9], 0.5, v[56:57] op_sel_hi:[1,0,1] neg_lo:[1,0,0] neg_hi:[1,0,0]
	v_pk_mul_f32 v[10:11], v[10:11], s[2:3] op_sel_hi:[1,0]
	v_mov_b32_e32 v15, v17
	v_pk_add_f32 v[12:13], v[8:9], v[10:11] op_sel:[0,1] op_sel_hi:[1,0] neg_lo:[0,1] neg_hi:[0,1]
	v_pk_add_f32 v[8:9], v[8:9], v[10:11] op_sel:[0,1] op_sel_hi:[1,0]
	v_mov_b32_e32 v10, v12
	v_mov_b32_e32 v11, v9
	;; [unrolled: 1-line block ×3, first 2 shown]
	ds_write_b64 v41, v[14:15] offset:1664
	ds_write2_b64 v43, v[4:5], v[10:11] offset1:104
	ds_write_b64 v43, v[8:9] offset:1664
	v_pk_add_f32 v[4:5], v[62:63], v[46:47]
	v_pk_add_f32 v[8:9], v[62:63], v[46:47] neg_lo:[0,1] neg_hi:[0,1]
	v_pk_fma_f32 v[4:5], v[4:5], 0.5, v[54:55] op_sel_hi:[1,0,1] neg_lo:[1,0,0] neg_hi:[1,0,0]
	v_pk_mul_f32 v[8:9], v[8:9], s[2:3] op_sel_hi:[1,0]
	v_pk_add_f32 v[6:7], v[54:55], v[62:63]
	v_pk_add_f32 v[10:11], v[4:5], v[8:9] op_sel:[0,1] op_sel_hi:[1,0] neg_lo:[0,1] neg_hi:[0,1]
	v_pk_add_f32 v[4:5], v[4:5], v[8:9] op_sel:[0,1] op_sel_hi:[1,0]
	v_pk_add_f32 v[6:7], v[6:7], v[46:47]
	v_mov_b32_e32 v8, v10
	v_mov_b32_e32 v9, v5
	v_add_u32_e32 v0, 0x1000, v31
	v_mov_b32_e32 v5, v11
	ds_write2_b64 v0, v[6:7], v[8:9] offset0:112 offset1:216
	ds_write_b64 v31, v[4:5] offset:6656
	s_waitcnt lgkmcnt(0)
	s_barrier
	global_load_dwordx4 v[2:5], v[2:3], off offset:2480
	v_mov_b32_e32 v43, v1
	v_lshl_add_u64 v[6:7], v[42:43], 3, s[4:5]
	global_load_dwordx4 v[6:9], v[6:7], off offset:2480
	v_mov_b32_e32 v41, v1
	v_lshl_add_u64 v[10:11], v[40:41], 3, s[4:5]
	global_load_dwordx4 v[10:13], v[10:11], off offset:2480
	v_lshl_add_u64 v[14:15], v[38:39], 3, s[4:5]
	global_load_dwordx4 v[14:17], v[14:15], off offset:2480
	ds_read_b64 v[22:23], v83
	ds_read2_b64 v[18:21], v67 offset0:112 offset1:190
	ds_read_b64 v[42:43], v82
	ds_read2_b64 v[38:41], v66 offset0:84 offset1:162
	ds_read_b64 v[44:45], v80
	s_waitcnt vmcnt(3) lgkmcnt(4)
	v_pk_mul_f32 v[46:47], v[2:3], v[22:23] op_sel:[0,1]
	s_nop 0
	v_pk_fma_f32 v[48:49], v[2:3], v[22:23], v[46:47] op_sel:[0,0,1] op_sel_hi:[1,1,0]
	v_pk_fma_f32 v[2:3], v[2:3], v[22:23], v[46:47] op_sel:[0,0,1] op_sel_hi:[1,0,0] neg_lo:[1,0,0] neg_hi:[1,0,0]
	s_waitcnt vmcnt(2)
	v_mov_b32_e32 v0, v9
	v_mov_b32_e32 v49, v3
	s_waitcnt lgkmcnt(3)
	v_pk_mul_f32 v[2:3], v[4:5], v[18:19] op_sel:[0,1]
	s_nop 0
	v_pk_fma_f32 v[22:23], v[4:5], v[18:19], v[2:3] op_sel:[0,0,1] op_sel_hi:[1,1,0]
	v_pk_fma_f32 v[2:3], v[4:5], v[18:19], v[2:3] op_sel:[0,0,1] op_sel_hi:[1,0,0] neg_lo:[1,0,0] neg_hi:[1,0,0]
	ds_read_b64 v[18:19], v33
	ds_read_b64 v[46:47], v35
	;; [unrolled: 1-line block ×3, first 2 shown]
	v_mov_b32_e32 v23, v3
	s_waitcnt lgkmcnt(3)
	v_pk_add_f32 v[2:3], v[44:45], v[48:49]
	v_pk_add_f32 v[4:5], v[48:49], v[22:23] neg_lo:[0,1] neg_hi:[0,1]
	v_pk_add_f32 v[52:53], v[2:3], v[22:23]
	v_pk_add_f32 v[2:3], v[48:49], v[22:23]
	v_pk_mul_f32 v[4:5], v[4:5], s[2:3] op_sel_hi:[1,0]
	v_pk_fma_f32 v[2:3], v[2:3], 0.5, v[44:45] op_sel_hi:[1,0,1] neg_lo:[1,0,0] neg_hi:[1,0,0]
	v_pk_mul_f32 v[48:49], v[40:41], v[6:7] op_sel:[0,1]
	v_pk_add_f32 v[22:23], v[2:3], v[4:5] op_sel:[0,1] op_sel_hi:[1,0] neg_lo:[0,1] neg_hi:[0,1]
	v_pk_add_f32 v[44:45], v[2:3], v[4:5] op_sel:[0,1] op_sel_hi:[1,0]
	ds_read2_b64 v[2:5], v68 offset0:12 offset1:90
	v_pk_fma_f32 v[54:55], v[40:41], v[6:7], v[48:49] op_sel:[0,0,1] op_sel_hi:[1,1,0]
	v_pk_fma_f32 v[6:7], v[40:41], v[6:7], v[48:49] op_sel:[0,0,1] op_sel_hi:[1,0,0] neg_lo:[0,0,1] neg_hi:[0,0,1]
	s_waitcnt lgkmcnt(0)
	v_mov_b32_e32 v55, v7
	v_pk_mul_f32 v[6:7], v[4:5], v[0:1] op_sel_hi:[1,0]
	s_waitcnt vmcnt(1)
	v_mov_b32_e32 v0, v13
	v_pk_fma_f32 v[40:41], v[4:5], v[8:9], v[6:7] op_sel:[0,0,1] op_sel_hi:[1,1,0]
	v_pk_fma_f32 v[4:5], v[4:5], v[8:9], v[6:7] op_sel:[0,0,1] op_sel_hi:[1,0,0] neg_lo:[0,0,1] neg_hi:[0,0,1]
	v_pk_mul_f32 v[6:7], v[10:11], v[38:39] op_sel:[0,1]
	s_barrier
	v_pk_fma_f32 v[8:9], v[10:11], v[38:39], v[6:7] op_sel:[0,0,1] op_sel_hi:[1,1,0]
	v_pk_fma_f32 v[6:7], v[10:11], v[38:39], v[6:7] op_sel:[0,0,1] op_sel_hi:[1,0,0] neg_lo:[1,0,0] neg_hi:[1,0,0]
	s_nop 0
	v_mov_b32_e32 v9, v7
	v_pk_mul_f32 v[6:7], v[2:3], v[0:1] op_sel_hi:[1,0]
	ds_write_b64 v29, v[52:53]
	v_pk_fma_f32 v[10:11], v[2:3], v[12:13], v[6:7] op_sel:[0,0,1] op_sel_hi:[1,1,0]
	v_pk_fma_f32 v[2:3], v[2:3], v[12:13], v[6:7] op_sel:[0,0,1] op_sel_hi:[1,0,0] neg_lo:[0,0,1] neg_hi:[0,0,1]
	s_waitcnt vmcnt(0)
	v_pk_mul_f32 v[6:7], v[14:15], v[42:43] op_sel:[0,1]
	v_mov_b32_e32 v11, v3
	v_pk_fma_f32 v[12:13], v[14:15], v[42:43], v[6:7] op_sel:[0,0,1] op_sel_hi:[1,1,0]
	v_pk_fma_f32 v[6:7], v[14:15], v[42:43], v[6:7] op_sel:[0,0,1] op_sel_hi:[1,0,0] neg_lo:[1,0,0] neg_hi:[1,0,0]
	v_pk_add_f32 v[2:3], v[46:47], v[8:9]
	v_mov_b32_e32 v13, v7
	v_pk_mul_f32 v[6:7], v[16:17], v[20:21] op_sel:[0,1]
	v_pk_add_f32 v[2:3], v[2:3], v[10:11]
	v_pk_fma_f32 v[14:15], v[16:17], v[20:21], v[6:7] op_sel:[0,0,1] op_sel_hi:[1,1,0]
	v_pk_fma_f32 v[6:7], v[16:17], v[20:21], v[6:7] op_sel:[0,0,1] op_sel_hi:[1,0,0] neg_lo:[1,0,0] neg_hi:[1,0,0]
	v_mov_b32_e32 v16, v22
	v_mov_b32_e32 v15, v7
	v_pk_add_f32 v[6:7], v[50:51], v[12:13]
	v_mov_b32_e32 v17, v45
	v_pk_add_f32 v[6:7], v[6:7], v[14:15]
	v_mov_b32_e32 v45, v23
	ds_write_b64 v29, v[16:17] offset:2496
	ds_write_b64 v29, v[44:45] offset:4992
	ds_write_b64 v37, v[6:7]
	v_pk_add_f32 v[6:7], v[12:13], v[14:15]
	v_pk_add_f32 v[12:13], v[12:13], v[14:15] neg_lo:[0,1] neg_hi:[0,1]
	v_pk_fma_f32 v[6:7], v[6:7], 0.5, v[50:51] op_sel_hi:[1,0,1] neg_lo:[1,0,0] neg_hi:[1,0,0]
	v_pk_mul_f32 v[12:13], v[12:13], s[2:3] op_sel_hi:[1,0]
	v_mov_b32_e32 v41, v5
	v_pk_add_f32 v[14:15], v[6:7], v[12:13] op_sel:[0,1] op_sel_hi:[1,0] neg_lo:[0,1] neg_hi:[0,1]
	v_pk_add_f32 v[6:7], v[6:7], v[12:13] op_sel:[0,1] op_sel_hi:[1,0]
	v_mov_b32_e32 v12, v14
	v_mov_b32_e32 v13, v7
	v_mov_b32_e32 v7, v15
	ds_write_b64 v37, v[12:13] offset:2496
	ds_write_b64 v37, v[6:7] offset:4992
	ds_write_b64 v35, v[2:3]
	v_pk_add_f32 v[2:3], v[8:9], v[10:11]
	v_pk_add_f32 v[6:7], v[8:9], v[10:11] neg_lo:[0,1] neg_hi:[0,1]
	v_pk_fma_f32 v[2:3], v[2:3], 0.5, v[46:47] op_sel_hi:[1,0,1] neg_lo:[1,0,0] neg_hi:[1,0,0]
	v_pk_mul_f32 v[6:7], v[6:7], s[2:3] op_sel_hi:[1,0]
	v_pk_add_f32 v[4:5], v[18:19], v[54:55]
	v_pk_add_f32 v[8:9], v[2:3], v[6:7] op_sel:[0,1] op_sel_hi:[1,0] neg_lo:[0,1] neg_hi:[0,1]
	v_pk_add_f32 v[2:3], v[2:3], v[6:7] op_sel:[0,1] op_sel_hi:[1,0]
	v_pk_add_f32 v[4:5], v[4:5], v[40:41]
	v_mov_b32_e32 v6, v8
	v_mov_b32_e32 v7, v3
	v_mov_b32_e32 v3, v9
	ds_write_b64 v35, v[6:7] offset:2496
	ds_write_b64 v35, v[2:3] offset:4992
	ds_write_b64 v33, v[4:5]
	v_pk_add_f32 v[2:3], v[54:55], v[40:41]
	v_pk_add_f32 v[4:5], v[54:55], v[40:41] neg_lo:[0,1] neg_hi:[0,1]
	v_pk_fma_f32 v[2:3], v[2:3], 0.5, v[18:19] op_sel_hi:[1,0,1] neg_lo:[1,0,0] neg_hi:[1,0,0]
	v_pk_mul_f32 v[4:5], v[4:5], s[2:3] op_sel_hi:[1,0]
	s_add_u32 s2, s4, 0x1d30
	v_pk_add_f32 v[6:7], v[2:3], v[4:5] op_sel:[0,1] op_sel_hi:[1,0] neg_lo:[0,1] neg_hi:[0,1]
	v_pk_add_f32 v[2:3], v[2:3], v[4:5] op_sel:[0,1] op_sel_hi:[1,0]
	v_mov_b32_e32 v4, v6
	v_mov_b32_e32 v5, v3
	;; [unrolled: 1-line block ×3, first 2 shown]
	ds_write_b64 v33, v[4:5] offset:2496
	ds_write_b64 v33, v[2:3] offset:4992
	s_waitcnt lgkmcnt(0)
	s_barrier
	ds_read_b64 v[6:7], v80
	s_addc_u32 s3, s5, 0
	v_sub_u32_e32 v0, v81, v25
                                        ; implicit-def: $vgpr3
                                        ; implicit-def: $vgpr4_vgpr5
	s_and_saveexec_b64 s[4:5], vcc
	s_xor_b64 s[4:5], exec, s[4:5]
	s_cbranch_execz .LBB0_18
; %bb.17:
	v_mov_b32_e32 v25, v1
	v_lshl_add_u64 v[2:3], v[24:25], 3, s[2:3]
	global_load_dwordx2 v[4:5], v[2:3], off
	ds_read_b64 v[2:3], v0 offset:7488
	v_mov_b32_e32 v9, 0.5
	v_mov_b32_e32 v10, v9
	s_waitcnt lgkmcnt(0)
	v_pk_add_f32 v[12:13], v[2:3], v[6:7]
	v_pk_add_f32 v[2:3], v[6:7], v[2:3] neg_lo:[0,1] neg_hi:[0,1]
	v_mov_b32_e32 v6, v13
	v_mov_b32_e32 v7, v2
	v_pk_mul_f32 v[6:7], v[6:7], 0.5 op_sel_hi:[1,0]
	s_waitcnt vmcnt(0)
	v_mov_b32_e32 v8, v5
	v_mov_b32_e32 v2, v7
	;; [unrolled: 1-line block ×4, first 2 shown]
	v_pk_mul_f32 v[2:3], v[8:9], v[2:3]
	v_pk_mul_f32 v[14:15], v[4:5], v[6:7] op_sel_hi:[0,1]
	v_pk_fma_f32 v[8:9], v[12:13], v[10:11], v[2:3]
	v_pk_fma_f32 v[10:11], v[12:13], v[10:11], v[2:3] neg_lo:[0,0,1] neg_hi:[0,0,1]
	v_pk_fma_f32 v[2:3], v[4:5], v[6:7], v[8:9] op_sel_hi:[0,1,1] neg_lo:[1,0,0] neg_hi:[1,0,0]
	v_pk_fma_f32 v[4:5], v[4:5], v[6:7], v[10:11] op_sel_hi:[0,1,1] neg_lo:[1,0,0] neg_hi:[1,0,0]
	v_add_f32_e32 v2, v8, v14
                                        ; implicit-def: $vgpr6_vgpr7
.LBB0_18:
	s_andn2_saveexec_b64 s[4:5], s[4:5]
	s_cbranch_execz .LBB0_20
; %bb.19:
	ds_read_b32 v1, v81 offset:3748
	s_waitcnt lgkmcnt(1)
	v_mov_b32_e32 v4, v7
	v_pk_add_f32 v[4:5], v[6:7], v[4:5] neg_lo:[0,1] neg_hi:[0,1]
	v_add_f32_e32 v2, v7, v6
	v_mov_b32_e32 v5, 0
	s_waitcnt lgkmcnt(0)
	v_xor_b32_e32 v1, 0x80000000, v1
	v_mov_b32_e32 v3, v5
	ds_write_b32 v81, v1 offset:3748
.LBB0_20:
	s_or_b64 exec, exec, s[4:5]
	v_mov_b32_e32 v29, 0
	s_waitcnt lgkmcnt(0)
	v_lshl_add_u64 v[6:7], v[28:29], 3, s[2:3]
	global_load_dwordx2 v[6:7], v[6:7], off
	v_mov_b32_e32 v37, v29
	v_lshl_add_u64 v[8:9], v[36:37], 3, s[2:3]
	global_load_dwordx2 v[8:9], v[8:9], off
	v_mov_b32_e32 v35, v29
	;; [unrolled: 3-line block ×4, first 2 shown]
	ds_write_b64 v80, v[2:3]
	ds_write_b64 v0, v[4:5] offset:7488
	v_lshl_add_u32 v1, v28, 3, v81
	v_lshl_add_u64 v[18:19], v[32:33], 3, s[2:3]
	ds_read_b64 v[4:5], v1
	ds_read_b64 v[14:15], v0 offset:6864
	global_load_dwordx2 v[18:19], v[18:19], off
	v_mov_b32_e32 v3, 0.5
	v_mov_b32_e32 v16, v3
	v_lshl_add_u32 v22, v36, 3, v81
	s_waitcnt lgkmcnt(0)
	v_pk_add_f32 v[20:21], v[4:5], v[14:15]
	v_pk_add_f32 v[4:5], v[4:5], v[14:15] neg_lo:[0,1] neg_hi:[0,1]
	v_mov_b32_e32 v14, v21
	v_mov_b32_e32 v15, v4
	v_pk_mul_f32 v[14:15], v[14:15], 0.5 op_sel_hi:[1,0]
	s_waitcnt vmcnt(4)
	v_mov_b32_e32 v17, v7
	v_mov_b32_e32 v21, v14
	;; [unrolled: 1-line block ×4, first 2 shown]
	v_pk_mul_f32 v[16:17], v[20:21], v[16:17]
	s_nop 0
	v_pk_fma_f32 v[20:21], v[2:3], v[4:5], v[16:17] neg_lo:[1,0,0] neg_hi:[1,0,0]
	v_pk_fma_f32 v[4:5], v[2:3], v[4:5], v[16:17]
	v_pk_fma_f32 v[16:17], v[6:7], v[14:15], v[20:21] op_sel_hi:[0,1,1] neg_lo:[1,0,0] neg_hi:[1,0,0]
	v_pk_fma_f32 v[20:21], v[6:7], v[14:15], v[4:5] op_sel_hi:[0,1,1]
	v_pk_fma_f32 v[4:5], v[6:7], v[14:15], v[4:5] op_sel_hi:[0,1,1] neg_lo:[1,0,0] neg_hi:[1,0,0]
	v_mov_b32_e32 v21, v5
	ds_write_b64 v1, v[20:21]
	ds_write_b64 v0, v[16:17] offset:6864
	ds_read_b64 v[4:5], v22
	ds_read_b64 v[6:7], v0 offset:6240
	v_mov_b32_e32 v14, v3
	s_waitcnt vmcnt(3)
	v_mov_b32_e32 v15, v9
	v_mov_b32_e32 v2, v9
	v_lshl_add_u32 v1, v34, 3, v81
	s_waitcnt lgkmcnt(0)
	v_pk_add_f32 v[16:17], v[4:5], v[6:7]
	v_pk_add_f32 v[4:5], v[4:5], v[6:7] neg_lo:[0,1] neg_hi:[0,1]
	v_mov_b32_e32 v6, v17
	v_mov_b32_e32 v7, v4
	v_pk_mul_f32 v[6:7], v[6:7], 0.5 op_sel_hi:[1,0]
	s_nop 0
	v_mov_b32_e32 v17, v6
	v_mov_b32_e32 v4, v7
	v_pk_mul_f32 v[14:15], v[16:17], v[14:15]
	s_nop 0
	v_pk_fma_f32 v[16:17], v[2:3], v[4:5], v[14:15] neg_lo:[1,0,0] neg_hi:[1,0,0]
	v_pk_fma_f32 v[4:5], v[2:3], v[4:5], v[14:15]
	v_pk_fma_f32 v[14:15], v[8:9], v[6:7], v[16:17] op_sel_hi:[0,1,1] neg_lo:[1,0,0] neg_hi:[1,0,0]
	v_pk_fma_f32 v[16:17], v[8:9], v[6:7], v[4:5] op_sel_hi:[0,1,1]
	v_pk_fma_f32 v[4:5], v[8:9], v[6:7], v[4:5] op_sel_hi:[0,1,1] neg_lo:[1,0,0] neg_hi:[1,0,0]
	v_mov_b32_e32 v17, v5
	ds_write_b64 v22, v[16:17]
	ds_write_b64 v0, v[14:15] offset:6240
	ds_read_b64 v[4:5], v1
	ds_read_b64 v[6:7], v0 offset:5616
	v_mov_b32_e32 v8, v3
	s_waitcnt vmcnt(2)
	v_mov_b32_e32 v9, v11
	v_mov_b32_e32 v2, v11
	v_lshl_add_u32 v16, v30, 3, v81
	s_waitcnt lgkmcnt(0)
	v_pk_add_f32 v[14:15], v[4:5], v[6:7]
	v_pk_add_f32 v[4:5], v[4:5], v[6:7] neg_lo:[0,1] neg_hi:[0,1]
	v_mov_b32_e32 v6, v15
	v_mov_b32_e32 v7, v4
	v_pk_mul_f32 v[6:7], v[6:7], 0.5 op_sel_hi:[1,0]
	s_nop 0
	v_mov_b32_e32 v15, v6
	v_mov_b32_e32 v4, v7
	v_pk_mul_f32 v[8:9], v[14:15], v[8:9]
	s_nop 0
	v_pk_fma_f32 v[14:15], v[2:3], v[4:5], v[8:9] neg_lo:[1,0,0] neg_hi:[1,0,0]
	v_pk_fma_f32 v[4:5], v[2:3], v[4:5], v[8:9]
	v_pk_fma_f32 v[8:9], v[10:11], v[6:7], v[14:15] op_sel_hi:[0,1,1] neg_lo:[1,0,0] neg_hi:[1,0,0]
	v_pk_fma_f32 v[14:15], v[10:11], v[6:7], v[4:5] op_sel_hi:[0,1,1]
	v_pk_fma_f32 v[4:5], v[10:11], v[6:7], v[4:5] op_sel_hi:[0,1,1] neg_lo:[1,0,0] neg_hi:[1,0,0]
	v_mov_b32_e32 v15, v5
	ds_write_b64 v1, v[14:15]
	ds_write_b64 v0, v[8:9] offset:5616
	ds_read_b64 v[4:5], v16
	ds_read_b64 v[6:7], v0 offset:4992
	v_mov_b32_e32 v8, v3
	s_waitcnt vmcnt(1)
	v_mov_b32_e32 v9, v13
	v_mov_b32_e32 v2, v13
	v_lshl_add_u32 v1, v32, 3, v81
	s_waitcnt lgkmcnt(0)
	v_pk_add_f32 v[10:11], v[4:5], v[6:7]
	v_pk_add_f32 v[4:5], v[4:5], v[6:7] neg_lo:[0,1] neg_hi:[0,1]
	v_mov_b32_e32 v6, v11
	v_mov_b32_e32 v7, v4
	v_pk_mul_f32 v[6:7], v[6:7], 0.5 op_sel_hi:[1,0]
	s_nop 0
	v_mov_b32_e32 v11, v6
	v_mov_b32_e32 v4, v7
	v_pk_mul_f32 v[8:9], v[10:11], v[8:9]
	s_nop 0
	v_pk_fma_f32 v[10:11], v[2:3], v[4:5], v[8:9] neg_lo:[1,0,0] neg_hi:[1,0,0]
	v_pk_fma_f32 v[4:5], v[2:3], v[4:5], v[8:9]
	v_pk_fma_f32 v[8:9], v[12:13], v[6:7], v[10:11] op_sel_hi:[0,1,1] neg_lo:[1,0,0] neg_hi:[1,0,0]
	v_pk_fma_f32 v[10:11], v[12:13], v[6:7], v[4:5] op_sel_hi:[0,1,1]
	v_pk_fma_f32 v[4:5], v[12:13], v[6:7], v[4:5] op_sel_hi:[0,1,1] neg_lo:[1,0,0] neg_hi:[1,0,0]
	v_mov_b32_e32 v11, v5
	ds_write_b64 v16, v[10:11]
	ds_write_b64 v0, v[8:9] offset:4992
	ds_read_b64 v[4:5], v1
	ds_read_b64 v[6:7], v0 offset:4368
	v_mov_b32_e32 v8, v3
	s_waitcnt vmcnt(0)
	v_mov_b32_e32 v9, v19
	v_mov_b32_e32 v2, v19
	s_waitcnt lgkmcnt(0)
	v_pk_add_f32 v[10:11], v[4:5], v[6:7]
	v_pk_add_f32 v[4:5], v[4:5], v[6:7] neg_lo:[0,1] neg_hi:[0,1]
	v_mov_b32_e32 v6, v11
	v_mov_b32_e32 v7, v4
	v_pk_mul_f32 v[6:7], v[6:7], 0.5 op_sel_hi:[1,0]
	s_nop 0
	v_mov_b32_e32 v11, v6
	v_mov_b32_e32 v4, v7
	v_pk_mul_f32 v[8:9], v[10:11], v[8:9]
	s_nop 0
	v_pk_fma_f32 v[10:11], v[2:3], v[4:5], v[8:9] neg_lo:[1,0,0] neg_hi:[1,0,0]
	v_pk_fma_f32 v[2:3], v[2:3], v[4:5], v[8:9]
	v_pk_fma_f32 v[4:5], v[18:19], v[6:7], v[10:11] op_sel_hi:[0,1,1] neg_lo:[1,0,0] neg_hi:[1,0,0]
	v_pk_fma_f32 v[8:9], v[18:19], v[6:7], v[2:3] op_sel_hi:[0,1,1]
	v_pk_fma_f32 v[2:3], v[18:19], v[6:7], v[2:3] op_sel_hi:[0,1,1] neg_lo:[1,0,0] neg_hi:[1,0,0]
	v_mov_b32_e32 v9, v3
	ds_write_b64 v1, v[8:9]
	ds_write_b64 v0, v[4:5] offset:4368
	s_waitcnt lgkmcnt(0)
	s_barrier
	s_and_saveexec_b64 s[2:3], s[0:1]
	s_cbranch_execz .LBB0_23
; %bb.21:
	ds_read2_b64 v[0:3], v80 offset1:78
	v_mov_b32_e32 v25, v29
	ds_read2_b64 v[4:7], v80 offset0:156 offset1:234
	v_lshl_add_u64 v[12:13], v[24:25], 3, v[26:27]
	v_add_u32_e32 v8, 0xc00, v80
	s_waitcnt lgkmcnt(1)
	global_store_dwordx2 v[12:13], v[0:1], off
	global_store_dwordx2 v[12:13], v[2:3], off offset:624
	v_add_u32_e32 v0, 0x800, v80
	ds_read2_b64 v[0:3], v0 offset0:56 offset1:134
	ds_read2_b64 v[8:11], v8 offset0:84 offset1:162
	s_waitcnt lgkmcnt(2)
	global_store_dwordx2 v[12:13], v[4:5], off offset:1248
	global_store_dwordx2 v[12:13], v[6:7], off offset:1872
	s_waitcnt lgkmcnt(1)
	global_store_dwordx2 v[12:13], v[0:1], off offset:2496
	global_store_dwordx2 v[12:13], v[2:3], off offset:3120
	s_waitcnt lgkmcnt(0)
	global_store_dwordx2 v[12:13], v[8:9], off offset:3744
	v_add_u32_e32 v0, 0x1000, v80
	s_movk_i32 s0, 0x1000
	ds_read2_b64 v[0:3], v0 offset0:112 offset1:190
	v_add_u32_e32 v4, 0x1800, v80
	v_add_co_u32_e32 v8, vcc, s0, v12
	ds_read2_b64 v[4:7], v4 offset0:12 offset1:90
	s_nop 0
	v_addc_co_u32_e32 v9, vcc, 0, v13, vcc
	s_movk_i32 s0, 0x4d
	v_cmp_eq_u32_e32 vcc, s0, v24
	global_store_dwordx2 v[8:9], v[10:11], off offset:272
	s_waitcnt lgkmcnt(1)
	global_store_dwordx2 v[8:9], v[0:1], off offset:896
	global_store_dwordx2 v[8:9], v[2:3], off offset:1520
	s_waitcnt lgkmcnt(0)
	global_store_dwordx2 v[8:9], v[4:5], off offset:2144
	global_store_dwordx2 v[8:9], v[6:7], off offset:2768
	s_and_b64 exec, exec, vcc
	s_cbranch_execz .LBB0_23
; %bb.22:
	ds_read_b64 v[0:1], v80 offset:6872
	v_add_co_u32_e32 v2, vcc, 0x1000, v26
	s_nop 1
	v_addc_co_u32_e32 v3, vcc, 0, v27, vcc
	s_waitcnt lgkmcnt(0)
	global_store_dwordx2 v[2:3], v[0:1], off offset:3392
.LBB0_23:
	s_endpgm
	.section	.rodata,"a",@progbits
	.p2align	6, 0x0
	.amdhsa_kernel fft_rtc_back_len936_factors_2_2_13_2_3_3_wgs_234_tpt_78_halfLds_sp_ip_CI_unitstride_sbrr_R2C_dirReg
		.amdhsa_group_segment_fixed_size 0
		.amdhsa_private_segment_fixed_size 0
		.amdhsa_kernarg_size 88
		.amdhsa_user_sgpr_count 2
		.amdhsa_user_sgpr_dispatch_ptr 0
		.amdhsa_user_sgpr_queue_ptr 0
		.amdhsa_user_sgpr_kernarg_segment_ptr 1
		.amdhsa_user_sgpr_dispatch_id 0
		.amdhsa_user_sgpr_kernarg_preload_length 0
		.amdhsa_user_sgpr_kernarg_preload_offset 0
		.amdhsa_user_sgpr_private_segment_size 0
		.amdhsa_uses_dynamic_stack 0
		.amdhsa_enable_private_segment 0
		.amdhsa_system_sgpr_workgroup_id_x 1
		.amdhsa_system_sgpr_workgroup_id_y 0
		.amdhsa_system_sgpr_workgroup_id_z 0
		.amdhsa_system_sgpr_workgroup_info 0
		.amdhsa_system_vgpr_workitem_id 0
		.amdhsa_next_free_vgpr 178
		.amdhsa_next_free_sgpr 38
		.amdhsa_accum_offset 180
		.amdhsa_reserve_vcc 1
		.amdhsa_float_round_mode_32 0
		.amdhsa_float_round_mode_16_64 0
		.amdhsa_float_denorm_mode_32 3
		.amdhsa_float_denorm_mode_16_64 3
		.amdhsa_dx10_clamp 1
		.amdhsa_ieee_mode 1
		.amdhsa_fp16_overflow 0
		.amdhsa_tg_split 0
		.amdhsa_exception_fp_ieee_invalid_op 0
		.amdhsa_exception_fp_denorm_src 0
		.amdhsa_exception_fp_ieee_div_zero 0
		.amdhsa_exception_fp_ieee_overflow 0
		.amdhsa_exception_fp_ieee_underflow 0
		.amdhsa_exception_fp_ieee_inexact 0
		.amdhsa_exception_int_div_zero 0
	.end_amdhsa_kernel
	.text
.Lfunc_end0:
	.size	fft_rtc_back_len936_factors_2_2_13_2_3_3_wgs_234_tpt_78_halfLds_sp_ip_CI_unitstride_sbrr_R2C_dirReg, .Lfunc_end0-fft_rtc_back_len936_factors_2_2_13_2_3_3_wgs_234_tpt_78_halfLds_sp_ip_CI_unitstride_sbrr_R2C_dirReg
                                        ; -- End function
	.section	.AMDGPU.csdata,"",@progbits
; Kernel info:
; codeLenInByte = 9504
; NumSgprs: 44
; NumVgprs: 178
; NumAgprs: 0
; TotalNumVgprs: 178
; ScratchSize: 0
; MemoryBound: 0
; FloatMode: 240
; IeeeMode: 1
; LDSByteSize: 0 bytes/workgroup (compile time only)
; SGPRBlocks: 5
; VGPRBlocks: 22
; NumSGPRsForWavesPerEU: 44
; NumVGPRsForWavesPerEU: 178
; AccumOffset: 180
; Occupancy: 2
; WaveLimiterHint : 1
; COMPUTE_PGM_RSRC2:SCRATCH_EN: 0
; COMPUTE_PGM_RSRC2:USER_SGPR: 2
; COMPUTE_PGM_RSRC2:TRAP_HANDLER: 0
; COMPUTE_PGM_RSRC2:TGID_X_EN: 1
; COMPUTE_PGM_RSRC2:TGID_Y_EN: 0
; COMPUTE_PGM_RSRC2:TGID_Z_EN: 0
; COMPUTE_PGM_RSRC2:TIDIG_COMP_CNT: 0
; COMPUTE_PGM_RSRC3_GFX90A:ACCUM_OFFSET: 44
; COMPUTE_PGM_RSRC3_GFX90A:TG_SPLIT: 0
	.text
	.p2alignl 6, 3212836864
	.fill 256, 4, 3212836864
	.type	__hip_cuid_3c8484d87fbab55c,@object ; @__hip_cuid_3c8484d87fbab55c
	.section	.bss,"aw",@nobits
	.globl	__hip_cuid_3c8484d87fbab55c
__hip_cuid_3c8484d87fbab55c:
	.byte	0                               ; 0x0
	.size	__hip_cuid_3c8484d87fbab55c, 1

	.ident	"AMD clang version 19.0.0git (https://github.com/RadeonOpenCompute/llvm-project roc-6.4.0 25133 c7fe45cf4b819c5991fe208aaa96edf142730f1d)"
	.section	".note.GNU-stack","",@progbits
	.addrsig
	.addrsig_sym __hip_cuid_3c8484d87fbab55c
	.amdgpu_metadata
---
amdhsa.kernels:
  - .agpr_count:     0
    .args:
      - .actual_access:  read_only
        .address_space:  global
        .offset:         0
        .size:           8
        .value_kind:     global_buffer
      - .offset:         8
        .size:           8
        .value_kind:     by_value
      - .actual_access:  read_only
        .address_space:  global
        .offset:         16
        .size:           8
        .value_kind:     global_buffer
      - .actual_access:  read_only
        .address_space:  global
        .offset:         24
        .size:           8
        .value_kind:     global_buffer
      - .offset:         32
        .size:           8
        .value_kind:     by_value
      - .actual_access:  read_only
        .address_space:  global
        .offset:         40
        .size:           8
        .value_kind:     global_buffer
      - .actual_access:  read_only
        .address_space:  global
        .offset:         48
        .size:           8
        .value_kind:     global_buffer
      - .offset:         56
        .size:           4
        .value_kind:     by_value
      - .actual_access:  read_only
        .address_space:  global
        .offset:         64
        .size:           8
        .value_kind:     global_buffer
      - .actual_access:  read_only
        .address_space:  global
        .offset:         72
        .size:           8
        .value_kind:     global_buffer
      - .address_space:  global
        .offset:         80
        .size:           8
        .value_kind:     global_buffer
    .group_segment_fixed_size: 0
    .kernarg_segment_align: 8
    .kernarg_segment_size: 88
    .language:       OpenCL C
    .language_version:
      - 2
      - 0
    .max_flat_workgroup_size: 234
    .name:           fft_rtc_back_len936_factors_2_2_13_2_3_3_wgs_234_tpt_78_halfLds_sp_ip_CI_unitstride_sbrr_R2C_dirReg
    .private_segment_fixed_size: 0
    .sgpr_count:     44
    .sgpr_spill_count: 0
    .symbol:         fft_rtc_back_len936_factors_2_2_13_2_3_3_wgs_234_tpt_78_halfLds_sp_ip_CI_unitstride_sbrr_R2C_dirReg.kd
    .uniform_work_group_size: 1
    .uses_dynamic_stack: false
    .vgpr_count:     178
    .vgpr_spill_count: 0
    .wavefront_size: 64
amdhsa.target:   amdgcn-amd-amdhsa--gfx950
amdhsa.version:
  - 1
  - 2
...

	.end_amdgpu_metadata
